;; amdgpu-corpus repo=ROCm/rocFFT kind=compiled arch=gfx950 opt=O3
	.text
	.amdgcn_target "amdgcn-amd-amdhsa--gfx950"
	.amdhsa_code_object_version 6
	.protected	fft_rtc_fwd_len1496_factors_17_8_11_wgs_187_tpt_187_halfLds_dp_ip_CI_sbrr_dirReg ; -- Begin function fft_rtc_fwd_len1496_factors_17_8_11_wgs_187_tpt_187_halfLds_dp_ip_CI_sbrr_dirReg
	.globl	fft_rtc_fwd_len1496_factors_17_8_11_wgs_187_tpt_187_halfLds_dp_ip_CI_sbrr_dirReg
	.p2align	8
	.type	fft_rtc_fwd_len1496_factors_17_8_11_wgs_187_tpt_187_halfLds_dp_ip_CI_sbrr_dirReg,@function
fft_rtc_fwd_len1496_factors_17_8_11_wgs_187_tpt_187_halfLds_dp_ip_CI_sbrr_dirReg: ; @fft_rtc_fwd_len1496_factors_17_8_11_wgs_187_tpt_187_halfLds_dp_ip_CI_sbrr_dirReg
; %bb.0:
	s_load_dwordx2 s[12:13], s[0:1], 0x18
	s_load_dwordx4 s[4:7], s[0:1], 0x0
	s_load_dwordx2 s[10:11], s[0:1], 0x50
	v_mul_u32_u24_e32 v1, 0x15f, v0
	v_add_u32_sdwa v6, s2, v1 dst_sel:DWORD dst_unused:UNUSED_PAD src0_sel:DWORD src1_sel:WORD_1
	s_waitcnt lgkmcnt(0)
	s_load_dwordx2 s[8:9], s[12:13], 0x0
	v_mov_b32_e32 v4, 0
	v_cmp_lt_u64_e64 s[2:3], s[6:7], 2
	v_mov_b32_e32 v7, v4
	s_and_b64 vcc, exec, s[2:3]
	v_mov_b64_e32 v[2:3], 0
	s_cbranch_vccnz .LBB0_8
; %bb.1:
	s_load_dwordx2 s[2:3], s[0:1], 0x10
	s_add_u32 s14, s12, 8
	s_addc_u32 s15, s13, 0
	s_mov_b64 s[16:17], 1
	v_mov_b64_e32 v[2:3], 0
	s_waitcnt lgkmcnt(0)
	s_add_u32 s18, s2, 8
	s_addc_u32 s19, s3, 0
.LBB0_2:                                ; =>This Inner Loop Header: Depth=1
	s_load_dwordx2 s[20:21], s[18:19], 0x0
                                        ; implicit-def: $vgpr8_vgpr9
	s_waitcnt lgkmcnt(0)
	v_or_b32_e32 v5, s21, v7
	v_cmp_ne_u64_e32 vcc, 0, v[4:5]
	s_and_saveexec_b64 s[2:3], vcc
	s_xor_b64 s[22:23], exec, s[2:3]
	s_cbranch_execz .LBB0_4
; %bb.3:                                ;   in Loop: Header=BB0_2 Depth=1
	v_cvt_f32_u32_e32 v1, s20
	v_cvt_f32_u32_e32 v5, s21
	s_sub_u32 s2, 0, s20
	s_subb_u32 s3, 0, s21
	v_fmac_f32_e32 v1, 0x4f800000, v5
	v_rcp_f32_e32 v1, v1
	s_nop 0
	v_mul_f32_e32 v1, 0x5f7ffffc, v1
	v_mul_f32_e32 v5, 0x2f800000, v1
	v_trunc_f32_e32 v5, v5
	v_fmac_f32_e32 v1, 0xcf800000, v5
	v_cvt_u32_f32_e32 v5, v5
	v_cvt_u32_f32_e32 v1, v1
	v_mul_lo_u32 v8, s2, v5
	v_mul_hi_u32 v10, s2, v1
	v_mul_lo_u32 v9, s3, v1
	v_add_u32_e32 v10, v10, v8
	v_mul_lo_u32 v12, s2, v1
	v_add_u32_e32 v13, v10, v9
	v_mul_hi_u32 v8, v1, v12
	v_mul_hi_u32 v11, v1, v13
	v_mul_lo_u32 v10, v1, v13
	v_mov_b32_e32 v9, v4
	v_lshl_add_u64 v[8:9], v[8:9], 0, v[10:11]
	v_mul_hi_u32 v11, v5, v12
	v_mul_lo_u32 v12, v5, v12
	v_add_co_u32_e32 v8, vcc, v8, v12
	v_mul_hi_u32 v10, v5, v13
	s_nop 0
	v_addc_co_u32_e32 v8, vcc, v9, v11, vcc
	v_mov_b32_e32 v9, v4
	s_nop 0
	v_addc_co_u32_e32 v11, vcc, 0, v10, vcc
	v_mul_lo_u32 v10, v5, v13
	v_lshl_add_u64 v[8:9], v[8:9], 0, v[10:11]
	v_add_co_u32_e32 v1, vcc, v1, v8
	v_mul_lo_u32 v10, s2, v1
	s_nop 0
	v_addc_co_u32_e32 v5, vcc, v5, v9, vcc
	v_mul_lo_u32 v8, s2, v5
	v_mul_hi_u32 v9, s2, v1
	v_add_u32_e32 v8, v9, v8
	v_mul_lo_u32 v9, s3, v1
	v_add_u32_e32 v12, v8, v9
	v_mul_hi_u32 v14, v5, v10
	v_mul_lo_u32 v15, v5, v10
	v_mul_hi_u32 v9, v1, v12
	v_mul_lo_u32 v8, v1, v12
	v_mul_hi_u32 v10, v1, v10
	v_mov_b32_e32 v11, v4
	v_lshl_add_u64 v[8:9], v[10:11], 0, v[8:9]
	v_add_co_u32_e32 v8, vcc, v8, v15
	v_mul_hi_u32 v13, v5, v12
	s_nop 0
	v_addc_co_u32_e32 v8, vcc, v9, v14, vcc
	v_mul_lo_u32 v10, v5, v12
	s_nop 0
	v_addc_co_u32_e32 v11, vcc, 0, v13, vcc
	v_mov_b32_e32 v9, v4
	v_lshl_add_u64 v[8:9], v[8:9], 0, v[10:11]
	v_add_co_u32_e32 v1, vcc, v1, v8
	v_mul_hi_u32 v10, v6, v1
	s_nop 0
	v_addc_co_u32_e32 v5, vcc, v5, v9, vcc
	v_mad_u64_u32 v[8:9], s[2:3], v6, v5, 0
	v_mov_b32_e32 v11, v4
	v_lshl_add_u64 v[8:9], v[10:11], 0, v[8:9]
	v_mad_u64_u32 v[12:13], s[2:3], v7, v1, 0
	v_add_co_u32_e32 v1, vcc, v8, v12
	v_mad_u64_u32 v[10:11], s[2:3], v7, v5, 0
	s_nop 0
	v_addc_co_u32_e32 v8, vcc, v9, v13, vcc
	v_mov_b32_e32 v9, v4
	s_nop 0
	v_addc_co_u32_e32 v11, vcc, 0, v11, vcc
	v_lshl_add_u64 v[8:9], v[8:9], 0, v[10:11]
	v_mul_lo_u32 v1, s21, v8
	v_mul_lo_u32 v5, s20, v9
	v_mad_u64_u32 v[10:11], s[2:3], s20, v8, 0
	v_add3_u32 v1, v11, v5, v1
	v_sub_u32_e32 v5, v7, v1
	v_mov_b32_e32 v11, s21
	v_sub_co_u32_e32 v14, vcc, v6, v10
	v_lshl_add_u64 v[12:13], v[8:9], 0, 1
	s_nop 0
	v_subb_co_u32_e64 v5, s[2:3], v5, v11, vcc
	v_subrev_co_u32_e64 v10, s[2:3], s20, v14
	v_subb_co_u32_e32 v1, vcc, v7, v1, vcc
	s_nop 0
	v_subbrev_co_u32_e64 v5, s[2:3], 0, v5, s[2:3]
	v_cmp_le_u32_e64 s[2:3], s21, v5
	v_cmp_le_u32_e32 vcc, s21, v1
	s_nop 0
	v_cndmask_b32_e64 v11, 0, -1, s[2:3]
	v_cmp_le_u32_e64 s[2:3], s20, v10
	s_nop 1
	v_cndmask_b32_e64 v10, 0, -1, s[2:3]
	v_cmp_eq_u32_e64 s[2:3], s21, v5
	s_nop 1
	v_cndmask_b32_e64 v5, v11, v10, s[2:3]
	v_lshl_add_u64 v[10:11], v[8:9], 0, 2
	v_cmp_ne_u32_e64 s[2:3], 0, v5
	s_nop 1
	v_cndmask_b32_e64 v5, v13, v11, s[2:3]
	v_cndmask_b32_e64 v11, 0, -1, vcc
	v_cmp_le_u32_e32 vcc, s20, v14
	s_nop 1
	v_cndmask_b32_e64 v13, 0, -1, vcc
	v_cmp_eq_u32_e32 vcc, s21, v1
	s_nop 1
	v_cndmask_b32_e32 v1, v11, v13, vcc
	v_cmp_ne_u32_e32 vcc, 0, v1
	v_cndmask_b32_e64 v1, v12, v10, s[2:3]
	s_nop 0
	v_cndmask_b32_e32 v9, v9, v5, vcc
	v_cndmask_b32_e32 v8, v8, v1, vcc
.LBB0_4:                                ;   in Loop: Header=BB0_2 Depth=1
	s_andn2_saveexec_b64 s[2:3], s[22:23]
	s_cbranch_execz .LBB0_6
; %bb.5:                                ;   in Loop: Header=BB0_2 Depth=1
	v_cvt_f32_u32_e32 v1, s20
	s_sub_i32 s22, 0, s20
	v_rcp_iflag_f32_e32 v1, v1
	s_nop 0
	v_mul_f32_e32 v1, 0x4f7ffffe, v1
	v_cvt_u32_f32_e32 v1, v1
	v_mul_lo_u32 v5, s22, v1
	v_mul_hi_u32 v5, v1, v5
	v_add_u32_e32 v1, v1, v5
	v_mul_hi_u32 v1, v6, v1
	v_mul_lo_u32 v5, v1, s20
	v_sub_u32_e32 v5, v6, v5
	v_add_u32_e32 v8, 1, v1
	v_subrev_u32_e32 v9, s20, v5
	v_cmp_le_u32_e32 vcc, s20, v5
	s_nop 1
	v_cndmask_b32_e32 v5, v5, v9, vcc
	v_cndmask_b32_e32 v1, v1, v8, vcc
	v_add_u32_e32 v8, 1, v1
	v_cmp_le_u32_e32 vcc, s20, v5
	v_mov_b32_e32 v9, v4
	s_nop 0
	v_cndmask_b32_e32 v8, v1, v8, vcc
.LBB0_6:                                ;   in Loop: Header=BB0_2 Depth=1
	s_or_b64 exec, exec, s[2:3]
	v_mad_u64_u32 v[10:11], s[2:3], v8, s20, 0
	s_load_dwordx2 s[2:3], s[14:15], 0x0
	v_mul_lo_u32 v1, v9, s20
	v_mul_lo_u32 v5, v8, s21
	v_add3_u32 v1, v11, v5, v1
	v_sub_co_u32_e32 v5, vcc, v6, v10
	s_add_u32 s16, s16, 1
	s_nop 0
	v_subb_co_u32_e32 v1, vcc, v7, v1, vcc
	s_addc_u32 s17, s17, 0
	s_waitcnt lgkmcnt(0)
	v_mul_lo_u32 v1, s2, v1
	v_mul_lo_u32 v6, s3, v5
	v_mad_u64_u32 v[2:3], s[2:3], s2, v5, v[2:3]
	s_add_u32 s14, s14, 8
	v_add3_u32 v3, v6, v3, v1
	s_addc_u32 s15, s15, 0
	v_mov_b64_e32 v[6:7], s[6:7]
	s_add_u32 s18, s18, 8
	v_cmp_ge_u64_e32 vcc, s[16:17], v[6:7]
	s_addc_u32 s19, s19, 0
	s_cbranch_vccnz .LBB0_9
; %bb.7:                                ;   in Loop: Header=BB0_2 Depth=1
	v_mov_b64_e32 v[6:7], v[8:9]
	s_branch .LBB0_2
.LBB0_8:
	v_mov_b64_e32 v[8:9], v[6:7]
.LBB0_9:
	s_lshl_b64 s[2:3], s[6:7], 3
	s_add_u32 s2, s12, s2
	s_addc_u32 s3, s13, s3
	s_load_dwordx2 s[6:7], s[2:3], 0x0
	s_load_dwordx2 s[12:13], s[0:1], 0x20
                                        ; implicit-def: $vgpr10_vgpr11
                                        ; implicit-def: $vgpr16_vgpr17
                                        ; implicit-def: $vgpr24_vgpr25
                                        ; implicit-def: $vgpr32_vgpr33
                                        ; implicit-def: $vgpr48_vgpr49
                                        ; implicit-def: $vgpr52_vgpr53
                                        ; implicit-def: $vgpr56_vgpr57
                                        ; implicit-def: $vgpr60_vgpr61
                                        ; implicit-def: $vgpr64_vgpr65
                                        ; implicit-def: $vgpr68_vgpr69
                                        ; implicit-def: $vgpr72_vgpr73
                                        ; implicit-def: $vgpr40_vgpr41
                                        ; implicit-def: $vgpr44_vgpr45
                                        ; implicit-def: $vgpr36_vgpr37
                                        ; implicit-def: $vgpr28_vgpr29
                                        ; implicit-def: $vgpr20_vgpr21
                                        ; implicit-def: $vgpr6_vgpr7
	s_waitcnt lgkmcnt(0)
	v_mad_u64_u32 v[2:3], s[0:1], s6, v8, v[2:3]
	v_mul_lo_u32 v1, s6, v9
	v_mul_lo_u32 v4, s7, v8
	s_mov_b32 s0, 0x15e75bc
	v_add3_u32 v3, v4, v3, v1
	v_mul_hi_u32 v1, v0, s0
	v_mul_u32_u24_e32 v1, 0xbb, v1
	v_sub_u32_e32 v124, v0, v1
	s_movk_i32 s0, 0x58
	v_cmp_gt_u64_e32 vcc, s[12:13], v[8:9]
	v_cmp_gt_u32_e64 s[0:1], s0, v124
	s_and_b64 s[6:7], vcc, s[0:1]
	v_lshl_add_u64 v[90:91], v[2:3], 4, s[10:11]
	s_and_saveexec_b64 s[2:3], s[6:7]
	s_cbranch_execz .LBB0_11
; %bb.10:
	v_mad_u64_u32 v[0:1], s[6:7], s8, v124, 0
	v_mov_b32_e32 v2, v1
	v_mad_u64_u32 v[2:3], s[6:7], s9, v124, v[2:3]
	v_add_u32_e32 v5, 0x58, v124
	v_mov_b32_e32 v1, v2
	v_mad_u64_u32 v[2:3], s[6:7], s8, v5, 0
	v_mov_b32_e32 v4, v3
	v_mad_u64_u32 v[4:5], s[6:7], s9, v5, v[4:5]
	v_mov_b32_e32 v3, v4
	v_lshl_add_u64 v[0:1], v[0:1], 4, v[90:91]
	v_lshl_add_u64 v[2:3], v[2:3], 4, v[90:91]
	global_load_dwordx4 v[4:7], v[0:1], off
	global_load_dwordx4 v[8:11], v[2:3], off
	v_add_u32_e32 v3, 0xb0, v124
	v_mad_u64_u32 v[0:1], s[6:7], s8, v3, 0
	v_mov_b32_e32 v2, v1
	v_mad_u64_u32 v[2:3], s[6:7], s9, v3, v[2:3]
	v_add_u32_e32 v13, 0x108, v124
	v_mov_b32_e32 v1, v2
	v_mad_u64_u32 v[2:3], s[6:7], s8, v13, 0
	v_mov_b32_e32 v12, v3
	v_mad_u64_u32 v[12:13], s[6:7], s9, v13, v[12:13]
	v_mov_b32_e32 v3, v12
	v_lshl_add_u64 v[0:1], v[0:1], 4, v[90:91]
	v_lshl_add_u64 v[2:3], v[2:3], 4, v[90:91]
	global_load_dwordx4 v[18:21], v[0:1], off
	global_load_dwordx4 v[14:17], v[2:3], off
	v_add_u32_e32 v3, 0x160, v124
	;; [unrolled: 14-line block ×5, first 2 shown]
	v_mad_u64_u32 v[0:1], s[6:7], s8, v3, 0
	v_mov_b32_e32 v2, v1
	v_mad_u64_u32 v[2:3], s[6:7], s9, v3, v[2:3]
	v_add_u32_e32 v13, 0x3c8, v124
	v_mov_b32_e32 v1, v2
	v_mad_u64_u32 v[2:3], s[6:7], s8, v13, 0
	v_mov_b32_e32 v12, v3
	v_mad_u64_u32 v[12:13], s[6:7], s9, v13, v[12:13]
	v_add_u32_e32 v47, 0x420, v124
	v_mov_b32_e32 v3, v12
	;; [unrolled: 5-line block ×3, first 2 shown]
	v_mad_u64_u32 v[46:47], s[6:7], s8, v49, 0
	v_mov_b32_e32 v48, v47
	v_mad_u64_u32 v[48:49], s[6:7], s9, v49, v[48:49]
	v_mov_b32_e32 v47, v48
	v_add_u32_e32 v49, 0x4d0, v124
	v_lshl_add_u64 v[74:75], v[46:47], 4, v[90:91]
	v_mad_u64_u32 v[46:47], s[6:7], s8, v49, 0
	v_mov_b32_e32 v48, v47
	v_mad_u64_u32 v[48:49], s[6:7], s9, v49, v[48:49]
	v_mov_b32_e32 v47, v48
	v_add_u32_e32 v49, 0x528, v124
	v_lshl_add_u64 v[76:77], v[46:47], 4, v[90:91]
	v_mad_u64_u32 v[46:47], s[6:7], s8, v49, 0
	v_mov_b32_e32 v48, v47
	v_mad_u64_u32 v[48:49], s[6:7], s9, v49, v[48:49]
	v_mov_b32_e32 v47, v48
	v_or_b32_e32 v49, 0x580, v124
	v_lshl_add_u64 v[78:79], v[46:47], 4, v[90:91]
	v_mad_u64_u32 v[46:47], s[6:7], s8, v49, 0
	v_mov_b32_e32 v48, v47
	v_mad_u64_u32 v[48:49], s[6:7], s9, v49, v[48:49]
	v_lshl_add_u64 v[0:1], v[0:1], 4, v[90:91]
	v_mov_b32_e32 v47, v48
	v_lshl_add_u64 v[2:3], v[2:3], 4, v[90:91]
	v_lshl_add_u64 v[12:13], v[12:13], 4, v[90:91]
	;; [unrolled: 1-line block ×3, first 2 shown]
	global_load_dwordx4 v[70:73], v[0:1], off
	global_load_dwordx4 v[66:69], v[2:3], off
	;; [unrolled: 1-line block ×7, first 2 shown]
.LBB0_11:
	s_or_b64 exec, exec, s[2:3]
	s_mov_b32 s2, 0x7faef3
	s_waitcnt vmcnt(0)
	v_add_f64 v[12:13], v[8:9], v[46:47]
	s_mov_b32 s3, 0xbfef7484
	s_mov_b32 s46, 0xacd6c6b4
	;; [unrolled: 1-line block ×3, first 2 shown]
	v_add_f64 v[74:75], v[10:11], -v[48:49]
	v_mul_f64 v[0:1], v[12:13], s[2:3]
	s_mov_b32 s47, 0x3fc7851a
	s_mov_b32 s7, 0x3fedd6d0
	s_mov_b32 s16, 0x5d8e7cdc
	v_add_f64 v[76:77], v[50:51], v[18:19]
	s_mov_b32 s15, 0xbfc7851a
	s_mov_b32 s14, s46
	v_fma_f64 v[2:3], s[46:47], v[74:75], v[0:1]
	s_mov_b32 s17, 0xbfd71e95
	v_add_f64 v[78:79], v[20:21], -v[52:53]
	v_mul_f64 v[80:81], v[76:77], s[6:7]
	v_fmac_f64_e32 v[0:1], s[14:15], v[74:75]
	s_mov_b32 s23, 0x3fd71e95
	s_mov_b32 s22, s16
	v_fma_f64 v[82:83], s[16:17], v[78:79], v[80:81]
	v_add_f64 v[0:1], v[0:1], v[4:5]
	v_fmac_f64_e32 v[80:81], s[22:23], v[78:79]
	s_mov_b32 s10, 0x910ea3b9
	v_add_f64 v[2:3], v[2:3], v[4:5]
	v_add_f64 v[0:1], v[80:81], v[0:1]
	s_mov_b32 s11, 0xbfeb34fa
	s_mov_b32 s20, 0x4363dd80
	v_add_f64 v[80:81], v[14:15], v[54:55]
	v_add_f64 v[2:3], v[82:83], v[2:3]
	s_mov_b32 s21, 0xbfe0d888
	s_mov_b32 s51, 0x3fe0d888
	s_mov_b32 s50, s20
	v_add_f64 v[82:83], v[16:17], -v[56:57]
	v_mul_f64 v[84:85], v[80:81], s[10:11]
	v_fma_f64 v[86:87], s[50:51], v[82:83], v[84:85]
	v_fmac_f64_e32 v[84:85], s[20:21], v[82:83]
	s_mov_b32 s12, 0x75d4884
	v_add_f64 v[0:1], v[84:85], v[0:1]
	s_mov_b32 s13, 0x3fe7a5f6
	s_mov_b32 s48, 0x2a9d6da3
	v_add_f64 v[84:85], v[22:23], v[58:59]
	v_add_f64 v[2:3], v[86:87], v[2:3]
	s_mov_b32 s49, 0xbfe58eea
	v_add_f64 v[88:89], v[24:25], -v[60:61]
	v_mul_f64 v[86:87], v[84:85], s[12:13]
	s_mov_b32 s27, 0x3fe58eea
	s_mov_b32 s26, s48
	v_fma_f64 v[92:93], s[48:49], v[88:89], v[86:87]
	v_fmac_f64_e32 v[86:87], s[26:27], v[88:89]
	s_mov_b32 s18, 0x6ed5f1bb
	v_add_f64 v[0:1], v[86:87], v[0:1]
	s_mov_b32 s19, 0xbfe348c8
	s_mov_b32 s38, 0x6c9a05f6
	v_add_f64 v[86:87], v[62:63], v[26:27]
	v_add_f64 v[2:3], v[92:93], v[2:3]
	s_mov_b32 s39, 0x3fe9895b
	v_add_f64 v[94:95], v[28:29], -v[64:65]
	v_mul_f64 v[92:93], v[86:87], s[18:19]
	v_fma_f64 v[96:97], s[38:39], v[94:95], v[92:93]
	s_mov_b32 s37, 0xbfe9895b
	s_mov_b32 s36, s38
	;; [unrolled: 1-line block ×3, first 2 shown]
	v_add_f64 v[2:3], v[96:97], v[2:3]
	v_fmac_f64_e32 v[92:93], s[36:37], v[94:95]
	s_mov_b32 s25, 0x3fdc86fa
	s_mov_b32 s34, 0x7c9e640b
	v_add_f64 v[96:97], v[30:31], v[66:67]
	v_add_f64 v[0:1], v[92:93], v[0:1]
	s_mov_b32 s35, 0x3feca52d
	s_mov_b32 s55, 0xbfeca52d
	;; [unrolled: 1-line block ×3, first 2 shown]
	v_add_f64 v[100:101], v[32:33], -v[68:69]
	v_mul_f64 v[92:93], v[96:97], s[24:25]
	v_fma_f64 v[98:99], s[54:55], v[100:101], v[92:93]
	s_mov_b32 s28, 0xc61f0d01
	v_add_f64 v[2:3], v[98:99], v[2:3]
	v_fmac_f64_e32 v[92:93], s[34:35], v[100:101]
	s_mov_b32 s29, 0xbfd183b1
	s_mov_b32 s56, 0x923c349f
	v_add_f64 v[98:99], v[70:71], v[34:35]
	v_add_f64 v[0:1], v[92:93], v[0:1]
	s_mov_b32 s57, 0x3feec746
	v_add_f64 v[104:105], v[36:37], -v[72:73]
	v_mul_f64 v[92:93], v[98:99], s[28:29]
	v_fma_f64 v[102:103], s[56:57], v[104:105], v[92:93]
	s_mov_b32 s30, 0x3259b75e
	v_add_f64 v[2:3], v[102:103], v[2:3]
	s_mov_b32 s41, 0xbfeec746
	s_mov_b32 s40, s56
	;; [unrolled: 1-line block ×4, first 2 shown]
	v_add_f64 v[102:103], v[38:39], v[42:43]
	v_fmac_f64_e32 v[92:93], s[40:41], v[104:105]
	s_mov_b32 s45, 0xbfefdd0d
	v_add_f64 v[110:111], v[44:45], -v[40:41]
	v_mul_f64 v[106:107], v[102:103], s[30:31]
	s_mov_b32 s43, 0x3fefdd0d
	s_mov_b32 s42, s44
	v_add_f64 v[92:93], v[92:93], v[0:1]
	v_fma_f64 v[0:1], s[44:45], v[110:111], v[106:107]
	v_fmac_f64_e32 v[106:107], s[42:43], v[110:111]
	v_add_f64 v[0:1], v[0:1], v[2:3]
	v_add_f64 v[2:3], v[106:107], v[92:93]
	v_mul_f64 v[106:107], v[12:13], s[10:11]
	v_fma_f64 v[92:93], s[20:21], v[74:75], v[106:107]
	v_mul_f64 v[108:109], v[76:77], s[24:25]
	v_add_f64 v[92:93], v[92:93], v[4:5]
	v_fma_f64 v[112:113], s[34:35], v[78:79], v[108:109]
	v_add_f64 v[92:93], v[112:113], v[92:93]
	v_mul_f64 v[112:113], v[80:81], s[30:31]
	v_fma_f64 v[114:115], s[44:45], v[82:83], v[112:113]
	v_add_f64 v[92:93], v[114:115], v[92:93]
	v_mul_f64 v[114:115], v[84:85], s[18:19]
	;; [unrolled: 3-line block ×6, first 2 shown]
	v_fma_f64 v[126:127], s[40:41], v[110:111], v[122:123]
	v_add_f64 v[92:93], v[126:127], v[92:93]
	s_and_saveexec_b64 s[52:53], s[0:1]
	s_cbranch_execz .LBB0_13
; %bb.12:
	v_mul_f64 v[126:127], v[74:75], s[20:21]
	v_mul_f64 v[128:129], v[78:79], s[34:35]
	v_add_f64 v[106:107], v[106:107], -v[126:127]
	v_mul_f64 v[130:131], v[82:83], s[44:45]
	v_add_f64 v[108:109], v[108:109], -v[128:129]
	v_add_f64 v[106:107], v[106:107], v[4:5]
	v_mul_f64 v[132:133], v[88:89], s[38:39]
	v_add_f64 v[112:113], v[112:113], -v[130:131]
	v_add_f64 v[106:107], v[108:109], v[106:107]
	v_mul_f64 v[134:135], v[94:95], s[16:17]
	v_mul_f64 v[140:141], v[110:111], s[40:41]
	v_add_f64 v[114:115], v[114:115], -v[132:133]
	v_add_f64 v[106:107], v[112:113], v[106:107]
	v_mul_f64 v[136:137], v[100:101], s[14:15]
	v_add_f64 v[122:123], v[122:123], -v[140:141]
	v_add_f64 v[116:117], v[116:117], -v[134:135]
	v_add_f64 v[106:107], v[114:115], v[106:107]
	v_mul_f64 v[140:141], v[74:75], s[36:37]
	v_mul_f64 v[138:139], v[104:105], s[26:27]
	v_add_f64 v[118:119], v[118:119], -v[136:137]
	v_add_f64 v[106:107], v[116:117], v[106:107]
	v_mul_f64 v[136:137], v[78:79], s[56:57]
	v_fma_f64 v[142:143], s[18:19], v[12:13], v[140:141]
	v_add_f64 v[120:121], v[120:121], -v[138:139]
	v_add_f64 v[106:107], v[118:119], v[106:107]
	v_mul_f64 v[132:133], v[82:83], s[16:17]
	v_fma_f64 v[138:139], s[28:29], v[76:77], v[136:137]
	v_add_f64 v[142:143], v[142:143], v[4:5]
	v_add_f64 v[106:107], v[120:121], v[106:107]
	v_mul_f64 v[128:129], v[88:89], s[20:21]
	v_fma_f64 v[134:135], s[6:7], v[80:81], v[132:133]
	v_add_f64 v[138:139], v[138:139], v[142:143]
	v_add_f64 v[106:107], v[122:123], v[106:107]
	v_mul_f64 v[122:123], v[94:95], s[42:43]
	v_fma_f64 v[130:131], s[10:11], v[84:85], v[128:129]
	v_add_f64 v[134:135], v[134:135], v[138:139]
	v_mul_f64 v[118:119], v[100:101], s[48:49]
	v_fma_f64 v[126:127], s[30:31], v[86:87], v[122:123]
	v_add_f64 v[130:131], v[130:131], v[134:135]
	v_mul_f64 v[114:115], v[104:105], s[14:15]
	v_fma_f64 v[120:121], s[12:13], v[96:97], v[118:119]
	v_add_f64 v[126:127], v[126:127], v[130:131]
	v_fma_f64 v[116:117], s[2:3], v[98:99], v[114:115]
	v_add_f64 v[120:121], v[120:121], v[126:127]
	v_mul_f64 v[112:113], v[110:111], s[34:35]
	v_add_f64 v[116:117], v[116:117], v[120:121]
	v_fma_f64 v[120:121], v[84:85], s[10:11], -v[128:129]
	v_fma_f64 v[128:129], v[12:13], s[18:19], -v[140:141]
	v_mul_f64 v[144:145], v[74:75], s[40:41]
	v_fma_f64 v[108:109], s[24:25], v[102:103], v[112:113]
	v_fma_f64 v[126:127], v[76:77], s[28:29], -v[136:137]
	v_add_f64 v[128:129], v[128:129], v[4:5]
	v_mul_f64 v[140:141], v[78:79], s[50:51]
	v_fma_f64 v[146:147], s[28:29], v[12:13], v[144:145]
	v_add_f64 v[108:109], v[108:109], v[116:117]
	v_fma_f64 v[116:117], v[96:97], s[12:13], -v[118:119]
	v_fma_f64 v[118:119], v[86:87], s[30:31], -v[122:123]
	v_fma_f64 v[122:123], v[80:81], s[6:7], -v[132:133]
	v_add_f64 v[126:127], v[126:127], v[128:129]
	v_mul_f64 v[136:137], v[82:83], s[26:27]
	v_fma_f64 v[142:143], s[10:11], v[76:77], v[140:141]
	v_add_f64 v[146:147], v[146:147], v[4:5]
	v_add_f64 v[122:123], v[122:123], v[126:127]
	v_mul_f64 v[132:133], v[88:89], s[54:55]
	v_fma_f64 v[138:139], s[12:13], v[80:81], v[136:137]
	v_add_f64 v[142:143], v[142:143], v[146:147]
	v_add_f64 v[120:121], v[120:121], v[122:123]
	v_mul_f64 v[128:129], v[94:95], s[14:15]
	v_fma_f64 v[134:135], s[24:25], v[84:85], v[132:133]
	v_add_f64 v[138:139], v[138:139], v[142:143]
	v_add_f64 v[118:119], v[118:119], v[120:121]
	v_mul_f64 v[122:123], v[100:101], s[42:43]
	v_fma_f64 v[130:131], s[2:3], v[86:87], v[128:129]
	v_add_f64 v[134:135], v[134:135], v[138:139]
	v_fma_f64 v[114:115], v[98:99], s[2:3], -v[114:115]
	v_add_f64 v[116:117], v[116:117], v[118:119]
	v_mul_f64 v[118:119], v[104:105], s[16:17]
	v_fma_f64 v[126:127], s[30:31], v[96:97], v[122:123]
	v_add_f64 v[130:131], v[130:131], v[134:135]
	v_fma_f64 v[112:113], v[102:103], s[24:25], -v[112:113]
	v_add_f64 v[114:115], v[114:115], v[116:117]
	v_fma_f64 v[120:121], s[6:7], v[98:99], v[118:119]
	v_add_f64 v[126:127], v[126:127], v[130:131]
	v_add_f64 v[112:113], v[112:113], v[114:115]
	v_mul_f64 v[114:115], v[110:111], s[36:37]
	v_add_f64 v[120:121], v[120:121], v[126:127]
	v_fma_f64 v[126:127], v[84:85], s[24:25], -v[132:133]
	v_fma_f64 v[132:133], v[12:13], s[28:29], -v[144:145]
	v_mul_f64 v[148:149], v[74:75], s[44:45]
	v_fma_f64 v[116:117], s[18:19], v[102:103], v[114:115]
	v_fma_f64 v[130:131], v[76:77], s[10:11], -v[140:141]
	v_add_f64 v[132:133], v[132:133], v[4:5]
	v_mul_f64 v[144:145], v[78:79], s[14:15]
	v_fma_f64 v[150:151], s[30:31], v[12:13], v[148:149]
	v_add_f64 v[116:117], v[116:117], v[120:121]
	v_fma_f64 v[120:121], v[96:97], s[30:31], -v[122:123]
	v_fma_f64 v[122:123], v[86:87], s[2:3], -v[128:129]
	v_fma_f64 v[128:129], v[80:81], s[12:13], -v[136:137]
	v_add_f64 v[130:131], v[130:131], v[132:133]
	v_mul_f64 v[140:141], v[82:83], s[56:57]
	v_fma_f64 v[146:147], s[2:3], v[76:77], v[144:145]
	v_add_f64 v[150:151], v[150:151], v[4:5]
	v_add_f64 v[128:129], v[128:129], v[130:131]
	v_mul_f64 v[136:137], v[88:89], s[22:23]
	v_fma_f64 v[142:143], s[28:29], v[80:81], v[140:141]
	v_add_f64 v[146:147], v[146:147], v[150:151]
	v_add_f64 v[126:127], v[126:127], v[128:129]
	v_mul_f64 v[132:133], v[94:95], s[54:55]
	v_fma_f64 v[138:139], s[6:7], v[84:85], v[136:137]
	v_add_f64 v[142:143], v[142:143], v[146:147]
	v_add_f64 v[122:123], v[122:123], v[126:127]
	v_mul_f64 v[128:129], v[100:101], s[20:21]
	v_fma_f64 v[134:135], s[24:25], v[86:87], v[132:133]
	v_add_f64 v[138:139], v[138:139], v[142:143]
	v_fma_f64 v[118:119], v[98:99], s[6:7], -v[118:119]
	v_add_f64 v[120:121], v[120:121], v[122:123]
	v_mul_f64 v[122:123], v[104:105], s[38:39]
	v_fma_f64 v[130:131], s[10:11], v[96:97], v[128:129]
	v_add_f64 v[134:135], v[134:135], v[138:139]
	v_fma_f64 v[114:115], v[102:103], s[18:19], -v[114:115]
	v_add_f64 v[118:119], v[118:119], v[120:121]
	v_fma_f64 v[126:127], s[18:19], v[98:99], v[122:123]
	v_add_f64 v[130:131], v[130:131], v[134:135]
	;; [unrolled: 40-line block ×3, first 2 shown]
	v_add_f64 v[118:119], v[118:119], v[122:123]
	v_mul_f64 v[122:123], v[110:111], s[20:21]
	v_add_f64 v[130:131], v[130:131], v[134:135]
	v_fma_f64 v[134:135], v[84:85], s[28:29], -v[140:141]
	v_fma_f64 v[140:141], v[12:13], s[24:25], -v[152:153]
	v_mul_f64 v[156:157], v[74:75], s[48:49]
	v_fma_f64 v[126:127], s[10:11], v[102:103], v[122:123]
	v_fma_f64 v[138:139], v[76:77], s[18:19], -v[148:149]
	v_add_f64 v[140:141], v[140:141], v[4:5]
	v_mul_f64 v[152:153], v[78:79], s[44:45]
	v_fma_f64 v[158:159], s[12:13], v[12:13], v[156:157]
	v_add_f64 v[126:127], v[126:127], v[130:131]
	v_fma_f64 v[130:131], v[96:97], s[6:7], -v[132:133]
	v_fma_f64 v[132:133], v[86:87], s[12:13], -v[136:137]
	;; [unrolled: 1-line block ×3, first 2 shown]
	v_add_f64 v[138:139], v[138:139], v[140:141]
	v_mul_f64 v[148:149], v[82:83], s[36:37]
	v_fma_f64 v[154:155], s[30:31], v[76:77], v[152:153]
	v_add_f64 v[158:159], v[158:159], v[4:5]
	v_add_f64 v[136:137], v[136:137], v[138:139]
	v_mul_f64 v[144:145], v[88:89], s[14:15]
	v_fma_f64 v[150:151], s[18:19], v[80:81], v[148:149]
	v_add_f64 v[154:155], v[154:155], v[158:159]
	v_add_f64 v[134:135], v[134:135], v[136:137]
	v_mul_f64 v[140:141], v[94:95], s[50:51]
	v_fma_f64 v[146:147], s[2:3], v[84:85], v[144:145]
	v_add_f64 v[150:151], v[150:151], v[154:155]
	v_add_f64 v[132:133], v[132:133], v[134:135]
	v_mul_f64 v[136:137], v[100:101], s[56:57]
	v_fma_f64 v[142:143], s[10:11], v[86:87], v[140:141]
	v_add_f64 v[146:147], v[146:147], v[150:151]
	v_add_f64 v[130:131], v[130:131], v[132:133]
	v_mul_f64 v[132:133], v[104:105], s[34:35]
	v_fma_f64 v[138:139], s[28:29], v[96:97], v[136:137]
	v_add_f64 v[142:143], v[142:143], v[146:147]
	v_fma_f64 v[134:135], s[24:25], v[98:99], v[132:133]
	v_add_f64 v[138:139], v[138:139], v[142:143]
	v_mul_f64 v[74:75], v[74:75], s[16:17]
	v_add_f64 v[134:135], v[134:135], v[138:139]
	v_fma_f64 v[138:139], v[84:85], s[2:3], -v[144:145]
	v_fma_f64 v[144:145], v[12:13], s[12:13], -v[156:157]
	v_fma_f64 v[146:147], s[6:7], v[12:13], v[74:75]
	v_fma_f64 v[12:13], v[12:13], s[6:7], -v[74:75]
	v_add_f64 v[144:145], v[144:145], v[4:5]
	v_add_f64 v[146:147], v[146:147], v[4:5]
	;; [unrolled: 1-line block ×7, first 2 shown]
	v_fma_f64 v[128:129], v[98:99], s[30:31], -v[128:129]
	v_add_f64 v[4:5], v[26:27], v[4:5]
	v_fma_f64 v[122:123], v[102:103], s[10:11], -v[122:123]
	v_add_f64 v[128:129], v[128:129], v[130:131]
	v_add_f64 v[4:5], v[30:31], v[4:5]
	;; [unrolled: 1-line block ×3, first 2 shown]
	v_mul_f64 v[128:129], v[110:111], s[22:23]
	v_add_f64 v[4:5], v[34:35], v[4:5]
	v_fma_f64 v[130:131], s[6:7], v[102:103], v[128:129]
	v_fma_f64 v[142:143], v[76:77], s[30:31], -v[152:153]
	v_mul_f64 v[78:79], v[78:79], s[48:49]
	v_add_f64 v[4:5], v[42:43], v[4:5]
	v_add_f64 v[130:131], v[130:131], v[134:135]
	v_fma_f64 v[134:135], v[96:97], s[28:29], -v[136:137]
	v_fma_f64 v[136:137], v[86:87], s[10:11], -v[140:141]
	;; [unrolled: 1-line block ×3, first 2 shown]
	v_add_f64 v[142:143], v[142:143], v[144:145]
	v_mul_f64 v[82:83], v[82:83], s[54:55]
	v_fma_f64 v[144:145], s[12:13], v[76:77], v[78:79]
	v_fma_f64 v[76:77], v[76:77], s[12:13], -v[78:79]
	v_add_f64 v[4:5], v[38:39], v[4:5]
	v_add_f64 v[140:141], v[140:141], v[142:143]
	v_mul_f64 v[88:89], v[88:89], s[44:45]
	v_fma_f64 v[142:143], s[24:25], v[80:81], v[82:83]
	v_fma_f64 v[80:81], v[80:81], s[24:25], -v[82:83]
	v_add_f64 v[12:13], v[76:77], v[12:13]
	v_add_f64 v[4:5], v[70:71], v[4:5]
	;; [unrolled: 1-line block ×3, first 2 shown]
	v_mul_f64 v[94:95], v[94:95], s[40:41]
	v_fma_f64 v[140:141], s[30:31], v[84:85], v[88:89]
	v_add_f64 v[144:145], v[144:145], v[146:147]
	v_fma_f64 v[84:85], v[84:85], s[30:31], -v[88:89]
	v_add_f64 v[12:13], v[80:81], v[12:13]
	v_add_f64 v[4:5], v[66:67], v[4:5]
	;; [unrolled: 1-line block ×3, first 2 shown]
	v_mul_f64 v[100:101], v[100:101], s[36:37]
	v_fma_f64 v[138:139], s[28:29], v[86:87], v[94:95]
	v_add_f64 v[142:143], v[142:143], v[144:145]
	v_fma_f64 v[86:87], v[86:87], s[28:29], -v[94:95]
	v_add_f64 v[12:13], v[84:85], v[12:13]
	v_add_f64 v[4:5], v[62:63], v[4:5]
	v_fma_f64 v[132:133], v[98:99], s[24:25], -v[132:133]
	v_add_f64 v[134:135], v[134:135], v[136:137]
	v_mul_f64 v[104:105], v[104:105], s[20:21]
	v_fma_f64 v[136:137], s[18:19], v[96:97], v[100:101]
	v_add_f64 v[140:141], v[140:141], v[142:143]
	v_fma_f64 v[96:97], v[96:97], s[18:19], -v[100:101]
	v_add_f64 v[12:13], v[86:87], v[12:13]
	v_add_f64 v[4:5], v[58:59], v[4:5]
	v_fma_f64 v[128:129], v[102:103], s[6:7], -v[128:129]
	v_add_f64 v[132:133], v[132:133], v[134:135]
	v_mul_f64 v[110:111], v[110:111], s[14:15]
	v_fma_f64 v[134:135], s[10:11], v[98:99], v[104:105]
	v_add_f64 v[138:139], v[138:139], v[140:141]
	v_fma_f64 v[98:99], v[98:99], s[10:11], -v[104:105]
	v_add_f64 v[12:13], v[96:97], v[12:13]
	v_add_f64 v[4:5], v[54:55], v[4:5]
	;; [unrolled: 1-line block ×3, first 2 shown]
	v_fma_f64 v[132:133], s[2:3], v[102:103], v[110:111]
	v_add_f64 v[136:137], v[136:137], v[138:139]
	v_fma_f64 v[102:103], v[102:103], s[2:3], -v[110:111]
	v_add_f64 v[12:13], v[98:99], v[12:13]
	v_add_f64 v[4:5], v[50:51], v[4:5]
	s_movk_i32 s33, 0x88
	v_add_f64 v[134:135], v[134:135], v[136:137]
	v_add_f64 v[12:13], v[102:103], v[12:13]
	;; [unrolled: 1-line block ×3, first 2 shown]
	v_mad_u32_u24 v74, v124, s33, 0
	v_add_f64 v[132:133], v[132:133], v[134:135]
	ds_write2_b64 v74, v[4:5], v[12:13] offset1:1
	ds_write2_b64 v74, v[128:129], v[122:123] offset0:2 offset1:3
	ds_write2_b64 v74, v[118:119], v[114:115] offset0:4 offset1:5
	;; [unrolled: 1-line block ×7, first 2 shown]
	ds_write_b64 v74, v[132:133] offset:128
.LBB0_13:
	s_or_b64 exec, exec, s[52:53]
	v_add_f64 v[118:119], v[8:9], -v[46:47]
	v_add_f64 v[114:115], v[10:11], v[48:49]
	v_mul_f64 v[116:117], v[118:119], s[20:21]
	v_add_f64 v[112:113], v[18:19], -v[50:51]
	v_fma_f64 v[4:5], v[114:115], s[10:11], -v[116:117]
	v_add_f64 v[108:109], v[52:53], v[20:21]
	v_mul_f64 v[110:111], v[112:113], s[34:35]
	v_add_f64 v[106:107], v[14:15], -v[54:55]
	v_add_f64 v[4:5], v[4:5], v[6:7]
	v_mul_f64 v[8:9], v[118:119], s[14:15]
	v_fma_f64 v[18:19], v[108:109], s[24:25], -v[110:111]
	v_add_f64 v[102:103], v[16:17], v[56:57]
	v_mul_f64 v[104:105], v[106:107], s[44:45]
	v_fma_f64 v[12:13], s[2:3], v[114:115], v[8:9]
	v_fma_f64 v[8:9], v[114:115], s[2:3], -v[8:9]
	v_add_f64 v[4:5], v[4:5], v[18:19]
	v_mul_f64 v[18:19], v[112:113], s[22:23]
	v_fma_f64 v[14:15], v[102:103], s[30:31], -v[104:105]
	v_add_f64 v[8:9], v[8:9], v[6:7]
	v_fma_f64 v[46:47], s[6:7], v[108:109], v[18:19]
	v_fma_f64 v[18:19], v[108:109], s[6:7], -v[18:19]
	v_add_f64 v[4:5], v[14:15], v[4:5]
	v_mul_f64 v[14:15], v[106:107], s[20:21]
	v_add_f64 v[100:101], v[22:23], -v[58:59]
	v_add_f64 v[8:9], v[8:9], v[18:19]
	v_fma_f64 v[18:19], s[10:11], v[102:103], v[14:15]
	v_fma_f64 v[14:15], v[102:103], s[10:11], -v[14:15]
	v_add_f64 v[96:97], v[24:25], v[60:61]
	v_mul_f64 v[98:99], v[100:101], s[38:39]
	v_add_f64 v[12:13], v[12:13], v[6:7]
	v_add_f64 v[8:9], v[14:15], v[8:9]
	v_fma_f64 v[14:15], v[96:97], s[18:19], -v[98:99]
	v_add_f64 v[12:13], v[12:13], v[46:47]
	v_add_f64 v[4:5], v[14:15], v[4:5]
	v_mul_f64 v[14:15], v[100:101], s[26:27]
	v_add_f64 v[94:95], v[26:27], -v[62:63]
	v_add_f64 v[12:13], v[18:19], v[12:13]
	v_fma_f64 v[18:19], s[12:13], v[96:97], v[14:15]
	v_fma_f64 v[14:15], v[96:97], s[12:13], -v[14:15]
	v_add_f64 v[58:59], v[64:65], v[28:29]
	v_mul_f64 v[62:63], v[94:95], s[16:17]
	v_add_f64 v[8:9], v[14:15], v[8:9]
	v_fma_f64 v[14:15], v[58:59], s[6:7], -v[62:63]
	v_add_f64 v[4:5], v[14:15], v[4:5]
	v_mul_f64 v[14:15], v[94:95], s[36:37]
	v_add_f64 v[54:55], v[30:31], -v[66:67]
	v_add_f64 v[12:13], v[18:19], v[12:13]
	v_fma_f64 v[18:19], s[18:19], v[58:59], v[14:15]
	v_fma_f64 v[14:15], v[58:59], s[18:19], -v[14:15]
	v_add_f64 v[46:47], v[32:33], v[68:69]
	v_mul_f64 v[50:51], v[54:55], s[14:15]
	v_add_f64 v[8:9], v[14:15], v[8:9]
	v_fma_f64 v[14:15], v[46:47], s[2:3], -v[50:51]
	;; [unrolled: 10-line block ×3, first 2 shown]
	v_add_f64 v[14:15], v[14:15], v[4:5]
	v_mul_f64 v[4:5], v[34:35], s[40:41]
	v_add_f64 v[12:13], v[18:19], v[12:13]
	v_fma_f64 v[18:19], s[28:29], v[26:27], v[4:5]
	v_lshl_add_u32 v120, v124, 3, 0
	v_add_f64 v[12:13], v[18:19], v[12:13]
	v_fma_f64 v[4:5], v[26:27], s[28:29], -v[4:5]
	v_add_f64 v[18:19], v[42:43], -v[38:39]
	v_add_u32_e32 v121, 0xa00, v120
	v_add_u32_e32 v122, 0x1600, v120
	;; [unrolled: 1-line block ×3, first 2 shown]
	v_add_f64 v[22:23], v[4:5], v[8:9]
	v_add_f64 v[8:9], v[40:41], v[44:45]
	v_mul_f64 v[4:5], v[18:19], s[40:41]
	s_waitcnt lgkmcnt(0)
	s_barrier
	ds_read2_b64 v[78:81], v120 offset1:187
	ds_read2_b64 v[86:89], v121 offset0:54 offset1:241
	ds_read2_b64 v[74:77], v122 offset0:44 offset1:231
	;; [unrolled: 1-line block ×3, first 2 shown]
	v_fma_f64 v[38:39], v[8:9], s[28:29], -v[4:5]
	v_add_f64 v[42:43], v[38:39], v[14:15]
	v_mul_f64 v[14:15], v[18:19], s[42:43]
	v_fma_f64 v[38:39], s[30:31], v[8:9], v[14:15]
	v_fma_f64 v[14:15], v[8:9], s[30:31], -v[14:15]
	v_add_f64 v[12:13], v[38:39], v[12:13]
	v_add_f64 v[14:15], v[14:15], v[22:23]
	s_waitcnt lgkmcnt(0)
	s_barrier
	s_and_saveexec_b64 s[14:15], s[0:1]
	s_cbranch_execz .LBB0_15
; %bb.14:
	v_add_f64 v[10:11], v[10:11], v[6:7]
	v_add_f64 v[10:11], v[20:21], v[10:11]
	;; [unrolled: 1-line block ×13, first 2 shown]
	v_mul_f64 v[38:39], v[26:27], s[12:13]
	v_add_f64 v[10:11], v[56:57], v[10:11]
	s_mov_b32 s12, 0x5d8e7cdc
	s_mov_b32 s20, 0x2a9d6da3
	s_mov_b32 s22, 0xeb564b22
	s_mov_b32 s38, 0x923c349f
	s_mov_b32 s16, 0x6c9a05f6
	v_mul_f64 v[126:127], v[114:115], s[10:11]
	v_mul_f64 v[128:129], v[108:109], s[24:25]
	v_mul_f64 v[70:71], v[58:59], s[6:7]
	v_mul_f64 v[66:67], v[46:47], s[2:3]
	v_add_f64 v[10:11], v[52:53], v[10:11]
	s_mov_b32 s13, 0xbfd71e95
	s_mov_b32 s10, 0x370991
	;; [unrolled: 1-line block ×12, first 2 shown]
	v_add_f64 v[10:11], v[48:49], v[10:11]
	v_mul_f64 v[16:17], v[118:119], s[12:13]
	s_mov_b32 s11, 0x3fedd6d0
	v_mul_f64 v[24:25], v[118:119], s[20:21]
	s_mov_b32 s7, 0x3fe7a5f6
	;; [unrolled: 2-line block ×5, first 2 shown]
	v_mul_f64 v[56:57], v[118:119], s[16:17]
	v_fma_f64 v[20:21], s[10:11], v[114:115], v[16:17]
	v_fma_f64 v[16:17], v[114:115], s[10:11], -v[16:17]
	v_fma_f64 v[28:29], s[6:7], v[114:115], v[24:25]
	v_fma_f64 v[24:25], v[114:115], s[6:7], -v[24:25]
	;; [unrolled: 2-line block ×6, first 2 shown]
	v_add_f64 v[64:65], v[126:127], v[116:117]
	v_add_f64 v[20:21], v[20:21], v[6:7]
	;; [unrolled: 1-line block ×14, first 2 shown]
	v_mul_f64 v[64:65], v[112:113], s[20:21]
	v_fma_f64 v[68:69], s[6:7], v[108:109], v[64:65]
	v_fma_f64 v[64:65], v[108:109], s[6:7], -v[64:65]
	v_add_f64 v[16:17], v[16:17], v[64:65]
	v_mul_f64 v[64:65], v[112:113], s[22:23]
	v_add_f64 v[20:21], v[20:21], v[68:69]
	v_fma_f64 v[68:69], s[24:25], v[108:109], v[64:65]
	v_fma_f64 v[64:65], v[108:109], s[24:25], -v[64:65]
	v_add_f64 v[24:25], v[24:25], v[64:65]
	v_mul_f64 v[64:65], v[112:113], s[16:17]
	s_mov_b32 s26, 0xacd6c6b4
	v_mul_f64 v[130:131], v[102:103], s[30:31]
	v_add_f64 v[28:29], v[28:29], v[68:69]
	v_fma_f64 v[68:69], s[18:19], v[108:109], v[64:65]
	v_fma_f64 v[64:65], v[108:109], s[18:19], -v[64:65]
	s_mov_b32 s27, 0xbfc7851a
	s_mov_b32 s30, 0x7faef3
	v_add_f64 v[32:33], v[32:33], v[64:65]
	v_mul_f64 v[64:65], v[112:113], s[26:27]
	s_mov_b32 s31, 0xbfef7484
	s_mov_b32 s46, 0x4363dd80
	v_mul_f64 v[22:23], v[8:9], s[28:29]
	v_add_f64 v[36:37], v[36:37], v[68:69]
	v_fma_f64 v[68:69], s[30:31], v[108:109], v[64:65]
	v_fma_f64 v[64:65], v[108:109], s[30:31], -v[64:65]
	s_mov_b32 s47, 0x3fe0d888
	s_mov_b32 s28, 0x910ea3b9
	v_add_f64 v[40:41], v[40:41], v[64:65]
	v_mul_f64 v[64:65], v[112:113], s[46:47]
	s_mov_b32 s29, 0xbfeb34fa
	v_add_f64 v[44:45], v[44:45], v[68:69]
	v_fma_f64 v[68:69], s[28:29], v[108:109], v[64:65]
	v_fma_f64 v[64:65], v[108:109], s[28:29], -v[64:65]
	s_mov_b32 s45, 0x3feec746
	s_mov_b32 s44, s38
	v_add_f64 v[48:49], v[48:49], v[64:65]
	v_mul_f64 v[64:65], v[112:113], s[44:45]
	v_add_f64 v[52:53], v[52:53], v[68:69]
	v_fma_f64 v[68:69], s[34:35], v[108:109], v[64:65]
	v_fma_f64 v[64:65], v[108:109], s[34:35], -v[64:65]
	v_add_f64 v[56:57], v[56:57], v[64:65]
	v_add_f64 v[64:65], v[128:129], v[110:111]
	;; [unrolled: 1-line block ×3, first 2 shown]
	v_mul_f64 v[64:65], v[106:107], s[2:3]
	v_add_f64 v[60:61], v[60:61], v[68:69]
	v_fma_f64 v[68:69], s[0:1], v[102:103], v[64:65]
	v_fma_f64 v[64:65], v[102:103], s[0:1], -v[64:65]
	v_add_f64 v[16:17], v[64:65], v[16:17]
	v_mul_f64 v[64:65], v[106:107], s[16:17]
	v_add_f64 v[20:21], v[68:69], v[20:21]
	v_fma_f64 v[68:69], s[18:19], v[102:103], v[64:65]
	v_fma_f64 v[64:65], v[102:103], s[18:19], -v[64:65]
	s_mov_b32 s37, 0x3fc7851a
	s_mov_b32 s36, s26
	v_add_f64 v[24:25], v[64:65], v[24:25]
	v_mul_f64 v[64:65], v[106:107], s[36:37]
	v_add_f64 v[28:29], v[68:69], v[28:29]
	v_fma_f64 v[68:69], s[30:31], v[102:103], v[64:65]
	v_fma_f64 v[64:65], v[102:103], s[30:31], -v[64:65]
	v_add_f64 v[32:33], v[64:65], v[32:33]
	v_mul_f64 v[64:65], v[106:107], s[44:45]
	v_add_f64 v[36:37], v[68:69], v[36:37]
	v_fma_f64 v[68:69], s[34:35], v[102:103], v[64:65]
	v_fma_f64 v[64:65], v[102:103], s[34:35], -v[64:65]
	s_mov_b32 s37, 0x3fe58eea
	s_mov_b32 s36, s20
	v_add_f64 v[40:41], v[64:65], v[40:41]
	v_mul_f64 v[64:65], v[106:107], s[36:37]
	v_add_f64 v[44:45], v[68:69], v[44:45]
	v_fma_f64 v[68:69], s[6:7], v[102:103], v[64:65]
	v_fma_f64 v[64:65], v[102:103], s[6:7], -v[64:65]
	v_add_f64 v[48:49], v[64:65], v[48:49]
	v_mul_f64 v[64:65], v[106:107], s[12:13]
	v_add_f64 v[52:53], v[68:69], v[52:53]
	v_fma_f64 v[68:69], s[10:11], v[102:103], v[64:65]
	v_fma_f64 v[64:65], v[102:103], s[10:11], -v[64:65]
	v_add_f64 v[56:57], v[64:65], v[56:57]
	v_add_f64 v[64:65], v[130:131], v[104:105]
	;; [unrolled: 1-line block ×3, first 2 shown]
	v_mul_f64 v[64:65], v[100:101], s[22:23]
	v_add_f64 v[60:61], v[68:69], v[60:61]
	v_fma_f64 v[68:69], s[24:25], v[96:97], v[64:65]
	v_fma_f64 v[64:65], v[96:97], s[24:25], -v[64:65]
	v_add_f64 v[16:17], v[64:65], v[16:17]
	v_mul_f64 v[64:65], v[100:101], s[26:27]
	v_add_f64 v[20:21], v[68:69], v[20:21]
	v_fma_f64 v[68:69], s[30:31], v[96:97], v[64:65]
	v_fma_f64 v[64:65], v[96:97], s[30:31], -v[64:65]
	v_add_f64 v[24:25], v[64:65], v[24:25]
	v_mul_f64 v[64:65], v[100:101], s[44:45]
	v_add_f64 v[28:29], v[68:69], v[28:29]
	v_fma_f64 v[68:69], s[34:35], v[96:97], v[64:65]
	v_fma_f64 v[64:65], v[96:97], s[34:35], -v[64:65]
	s_mov_b32 s41, 0x3fd71e95
	s_mov_b32 s40, s12
	v_add_f64 v[32:33], v[64:65], v[32:33]
	v_mul_f64 v[64:65], v[100:101], s[40:41]
	v_add_f64 v[36:37], v[68:69], v[36:37]
	v_fma_f64 v[68:69], s[10:11], v[96:97], v[64:65]
	v_fma_f64 v[64:65], v[96:97], s[10:11], -v[64:65]
	v_add_f64 v[40:41], v[64:65], v[40:41]
	v_mul_f64 v[64:65], v[100:101], s[2:3]
	v_add_f64 v[44:45], v[68:69], v[44:45]
	v_fma_f64 v[68:69], s[0:1], v[96:97], v[64:65]
	v_fma_f64 v[64:65], v[96:97], s[0:1], -v[64:65]
	s_mov_b32 s43, 0xbfe0d888
	s_mov_b32 s42, s46
	v_add_f64 v[48:49], v[64:65], v[48:49]
	v_mul_f64 v[64:65], v[100:101], s[42:43]
	v_mul_f64 v[132:133], v[96:97], s[18:19]
	v_add_f64 v[52:53], v[68:69], v[52:53]
	v_fma_f64 v[68:69], s[28:29], v[96:97], v[64:65]
	v_fma_f64 v[64:65], v[96:97], s[28:29], -v[64:65]
	v_add_f64 v[56:57], v[64:65], v[56:57]
	v_add_f64 v[64:65], v[132:133], v[98:99]
	;; [unrolled: 1-line block ×3, first 2 shown]
	v_mul_f64 v[64:65], v[94:95], s[38:39]
	v_add_f64 v[60:61], v[68:69], v[60:61]
	v_fma_f64 v[68:69], s[34:35], v[58:59], v[64:65]
	v_fma_f64 v[64:65], v[58:59], s[34:35], -v[64:65]
	v_add_f64 v[16:17], v[64:65], v[16:17]
	v_mul_f64 v[64:65], v[94:95], s[46:47]
	v_add_f64 v[20:21], v[68:69], v[20:21]
	v_fma_f64 v[68:69], s[28:29], v[58:59], v[64:65]
	v_fma_f64 v[64:65], v[58:59], s[28:29], -v[64:65]
	v_add_f64 v[24:25], v[64:65], v[24:25]
	;; [unrolled: 5-line block ×4, first 2 shown]
	v_mul_f64 v[64:65], v[94:95], s[26:27]
	v_add_f64 v[44:45], v[68:69], v[44:45]
	v_fma_f64 v[68:69], s[30:31], v[58:59], v[64:65]
	v_fma_f64 v[64:65], v[58:59], s[30:31], -v[64:65]
	s_mov_b32 s39, 0x3fefdd0d
	s_mov_b32 s38, s22
	v_add_f64 v[48:49], v[64:65], v[48:49]
	v_mul_f64 v[64:65], v[94:95], s[38:39]
	v_add_f64 v[52:53], v[68:69], v[52:53]
	v_fma_f64 v[68:69], s[24:25], v[58:59], v[64:65]
	v_fma_f64 v[58:59], v[58:59], s[24:25], -v[64:65]
	v_add_f64 v[56:57], v[58:59], v[56:57]
	v_add_f64 v[58:59], v[70:71], v[62:63]
	;; [unrolled: 1-line block ×3, first 2 shown]
	v_mul_f64 v[58:59], v[54:55], s[16:17]
	v_fma_f64 v[62:63], s[18:19], v[46:47], v[58:59]
	v_fma_f64 v[58:59], v[46:47], s[18:19], -v[58:59]
	v_add_f64 v[16:17], v[58:59], v[16:17]
	v_mul_f64 v[58:59], v[54:55], s[44:45]
	v_add_f64 v[20:21], v[62:63], v[20:21]
	v_fma_f64 v[62:63], s[34:35], v[46:47], v[58:59]
	v_fma_f64 v[58:59], v[46:47], s[34:35], -v[58:59]
	v_add_f64 v[24:25], v[58:59], v[24:25]
	v_mul_f64 v[58:59], v[54:55], s[12:13]
	v_add_f64 v[28:29], v[62:63], v[28:29]
	v_fma_f64 v[62:63], s[10:11], v[46:47], v[58:59]
	v_fma_f64 v[58:59], v[46:47], s[10:11], -v[58:59]
	v_add_f64 v[32:33], v[58:59], v[32:33]
	v_mul_f64 v[58:59], v[54:55], s[42:43]
	v_add_f64 v[36:37], v[62:63], v[36:37]
	v_fma_f64 v[62:63], s[28:29], v[46:47], v[58:59]
	v_fma_f64 v[58:59], v[46:47], s[28:29], -v[58:59]
	v_add_f64 v[40:41], v[58:59], v[40:41]
	v_mul_f64 v[58:59], v[54:55], s[38:39]
	v_add_f64 v[50:51], v[66:67], v[50:51]
	v_add_f64 v[44:45], v[62:63], v[44:45]
	v_fma_f64 v[62:63], s[24:25], v[46:47], v[58:59]
	v_fma_f64 v[58:59], v[46:47], s[24:25], -v[58:59]
	v_mul_f64 v[54:55], v[54:55], s[20:21]
	v_add_f64 v[6:7], v[50:51], v[6:7]
	v_mul_f64 v[50:51], v[34:35], s[42:43]
	v_add_f64 v[48:49], v[58:59], v[48:49]
	v_fma_f64 v[58:59], s[6:7], v[46:47], v[54:55]
	v_fma_f64 v[46:47], v[46:47], s[6:7], -v[54:55]
	v_fma_f64 v[54:55], s[28:29], v[26:27], v[50:51]
	v_fma_f64 v[50:51], v[26:27], s[28:29], -v[50:51]
	s_mov_b32 s3, 0x3feca52d
	v_add_f64 v[16:17], v[50:51], v[16:17]
	v_mul_f64 v[50:51], v[34:35], s[2:3]
	v_add_f64 v[20:21], v[54:55], v[20:21]
	v_fma_f64 v[54:55], s[0:1], v[26:27], v[50:51]
	v_fma_f64 v[50:51], v[26:27], s[0:1], -v[50:51]
	v_add_f64 v[24:25], v[50:51], v[24:25]
	v_mul_f64 v[50:51], v[34:35], s[22:23]
	v_add_f64 v[28:29], v[54:55], v[28:29]
	v_fma_f64 v[54:55], s[24:25], v[26:27], v[50:51]
	v_fma_f64 v[50:51], v[26:27], s[24:25], -v[50:51]
	s_mov_b32 s21, 0x3fe9895b
	s_mov_b32 s20, s16
	v_add_f64 v[32:33], v[50:51], v[32:33]
	v_mul_f64 v[50:51], v[34:35], s[20:21]
	v_add_f64 v[36:37], v[54:55], v[36:37]
	v_fma_f64 v[54:55], s[18:19], v[26:27], v[50:51]
	v_fma_f64 v[50:51], v[26:27], s[18:19], -v[50:51]
	v_add_f64 v[40:41], v[50:51], v[40:41]
	v_mul_f64 v[50:51], v[34:35], s[12:13]
	v_add_f64 v[30:31], v[38:39], v[30:31]
	v_add_f64 v[44:45], v[54:55], v[44:45]
	v_fma_f64 v[54:55], s[10:11], v[26:27], v[50:51]
	v_fma_f64 v[50:51], v[26:27], s[10:11], -v[50:51]
	v_mul_f64 v[34:35], v[34:35], s[26:27]
	v_add_f64 v[6:7], v[30:31], v[6:7]
	v_mul_f64 v[30:31], v[18:19], s[26:27]
	v_add_f64 v[48:49], v[50:51], v[48:49]
	v_fma_f64 v[50:51], s[30:31], v[26:27], v[34:35]
	v_fma_f64 v[26:27], v[26:27], s[30:31], -v[34:35]
	v_fma_f64 v[34:35], s[30:31], v[8:9], v[30:31]
	v_fma_f64 v[30:31], v[8:9], s[30:31], -v[30:31]
	v_add_f64 v[16:17], v[30:31], v[16:17]
	v_mul_f64 v[30:31], v[18:19], s[40:41]
	v_add_f64 v[20:21], v[34:35], v[20:21]
	v_fma_f64 v[34:35], s[10:11], v[8:9], v[30:31]
	v_fma_f64 v[30:31], v[8:9], s[10:11], -v[30:31]
	v_add_f64 v[24:25], v[30:31], v[24:25]
	v_mul_f64 v[30:31], v[18:19], s[42:43]
	v_add_f64 v[28:29], v[34:35], v[28:29]
	v_fma_f64 v[34:35], s[28:29], v[8:9], v[30:31]
	v_fma_f64 v[30:31], v[8:9], s[28:29], -v[30:31]
	v_add_f64 v[60:61], v[68:69], v[60:61]
	v_add_f64 v[30:31], v[30:31], v[32:33]
	v_mul_f64 v[32:33], v[18:19], s[36:37]
	v_add_f64 v[52:53], v[62:63], v[52:53]
	v_add_f64 v[58:59], v[58:59], v[60:61]
	;; [unrolled: 1-line block ×4, first 2 shown]
	v_fma_f64 v[36:37], s[6:7], v[8:9], v[32:33]
	v_fma_f64 v[32:33], v[8:9], s[6:7], -v[32:33]
	v_mul_f64 v[38:39], v[18:19], s[16:17]
	v_mul_f64 v[18:19], v[18:19], s[2:3]
	v_add_f64 v[4:5], v[22:23], v[4:5]
	v_add_f64 v[52:53], v[54:55], v[52:53]
	;; [unrolled: 1-line block ×6, first 2 shown]
	v_fma_f64 v[40:41], s[18:19], v[8:9], v[38:39]
	v_fma_f64 v[38:39], v[8:9], s[18:19], -v[38:39]
	v_fma_f64 v[44:45], s[0:1], v[8:9], v[18:19]
	v_fma_f64 v[8:9], v[8:9], s[0:1], -v[18:19]
	v_add_f64 v[4:5], v[4:5], v[6:7]
	v_lshl_add_u32 v6, v124, 7, v120
	v_add_f64 v[40:41], v[40:41], v[52:53]
	v_add_f64 v[38:39], v[38:39], v[48:49]
	;; [unrolled: 1-line block ×4, first 2 shown]
	ds_write2_b64 v6, v[10:11], v[20:21] offset1:1
	ds_write2_b64 v6, v[28:29], v[34:35] offset0:2 offset1:3
	ds_write2_b64 v6, v[36:37], v[40:41] offset0:4 offset1:5
	;; [unrolled: 1-line block ×7, first 2 shown]
	ds_write_b64 v6, v[16:17] offset:128
.LBB0_15:
	s_or_b64 exec, exec, s[14:15]
	s_movk_i32 s0, 0xf1
	v_mul_lo_u16_sdwa v4, v124, s0 dst_sel:DWORD dst_unused:UNUSED_PAD src0_sel:BYTE_0 src1_sel:DWORD
	v_lshrrev_b16_e32 v36, 12, v4
	v_mul_lo_u16_e32 v4, 17, v36
	v_sub_u16_e32 v68, v124, v4
	v_mov_b32_e32 v4, 7
	v_mul_u32_u24_sdwa v4, v68, v4 dst_sel:DWORD dst_unused:UNUSED_PAD src0_sel:BYTE_0 src1_sel:DWORD
	v_lshlrev_b32_e32 v28, 4, v4
	s_waitcnt lgkmcnt(0)
	s_barrier
	global_load_dwordx4 v[4:7], v28, s[4:5]
	global_load_dwordx4 v[16:19], v28, s[4:5] offset:16
	global_load_dwordx4 v[20:23], v28, s[4:5] offset:32
	;; [unrolled: 1-line block ×6, first 2 shown]
	ds_read2_b64 v[28:31], v120 offset1:187
	ds_read2_b64 v[48:51], v121 offset0:54 offset1:241
	ds_read2_b64 v[32:35], v122 offset0:44 offset1:231
	;; [unrolled: 1-line block ×3, first 2 shown]
	v_mul_u32_u24_e32 v70, 0x440, v36
	s_mov_b32 s0, 0x667f3bcd
	s_mov_b32 s1, 0x3fe6a09e
	;; [unrolled: 1-line block ×4, first 2 shown]
	v_mov_b32_e32 v69, 3
	s_waitcnt lgkmcnt(0)
	s_barrier
	s_waitcnt vmcnt(6)
	v_mul_f64 v[56:57], v[30:31], v[6:7]
	v_mul_f64 v[6:7], v[80:81], v[6:7]
	s_waitcnt vmcnt(5)
	v_mul_f64 v[58:59], v[48:49], v[18:19]
	v_mul_f64 v[36:37], v[86:87], v[18:19]
	;; [unrolled: 3-line block ×3, first 2 shown]
	s_waitcnt vmcnt(3)
	v_mul_f64 v[60:61], v[32:33], v[10:11]
	s_waitcnt vmcnt(2)
	v_mul_f64 v[62:63], v[34:35], v[26:27]
	v_mul_f64 v[26:27], v[76:77], v[26:27]
	s_waitcnt vmcnt(1)
	v_mul_f64 v[64:65], v[52:53], v[40:41]
	;; [unrolled: 3-line block ×3, first 2 shown]
	v_mul_f64 v[46:47], v[84:85], v[46:47]
	v_fma_f64 v[56:57], v[80:81], v[4:5], -v[56:57]
	v_fmac_f64_e32 v[6:7], v[30:31], v[4:5]
	v_fma_f64 v[4:5], v[86:87], v[16:17], -v[58:59]
	v_fmac_f64_e32 v[36:37], v[48:49], v[16:17]
	;; [unrolled: 2-line block ×3, first 2 shown]
	v_fma_f64 v[18:19], v[74:75], v[8:9], -v[60:61]
	v_fma_f64 v[20:21], v[76:77], v[24:25], -v[62:63]
	v_fmac_f64_e32 v[26:27], v[34:35], v[24:25]
	v_fma_f64 v[24:25], v[82:83], v[38:39], -v[64:65]
	v_fmac_f64_e32 v[40:41], v[52:53], v[38:39]
	;; [unrolled: 2-line block ×3, first 2 shown]
	v_add_f64 v[18:19], v[78:79], -v[18:19]
	v_add_f64 v[30:31], v[4:5], -v[24:25]
	;; [unrolled: 1-line block ×7, first 2 shown]
	v_fma_f64 v[50:51], v[78:79], 2.0, -v[18:19]
	v_fma_f64 v[4:5], v[4:5], 2.0, -v[30:31]
	;; [unrolled: 1-line block ×6, first 2 shown]
	v_add_f64 v[54:55], v[18:19], -v[34:35]
	v_add_f64 v[22:23], v[20:21], -v[40:41]
	v_add_f64 v[56:57], v[24:25], v[26:27]
	v_add_f64 v[4:5], v[50:51], -v[4:5]
	v_fma_f64 v[58:59], v[18:19], 2.0, -v[54:55]
	v_add_f64 v[40:41], v[52:53], -v[6:7]
	v_fma_f64 v[6:7], v[20:21], 2.0, -v[22:23]
	v_mul_f64 v[44:45], v[22:23], s[0:1]
	v_fma_f64 v[22:23], s[0:1], v[22:23], v[54:55]
	v_add_f64 v[48:49], v[38:39], -v[16:17]
	v_fma_f64 v[16:17], v[24:25], 2.0, -v[56:57]
	v_fma_f64 v[60:61], v[50:51], 2.0, -v[4:5]
	;; [unrolled: 1-line block ×3, first 2 shown]
	v_fma_f64 v[26:27], s[2:3], v[6:7], v[58:59]
	v_fmac_f64_e32 v[22:23], s[2:3], v[56:57]
	v_mul_f64 v[46:47], v[56:57], s[0:1]
	v_mul_f64 v[50:51], v[6:7], s[0:1]
	v_mul_f64 v[52:53], v[16:17], s[0:1]
	v_add_f64 v[20:21], v[4:5], -v[48:49]
	v_add_f64 v[24:25], v[60:61], -v[18:19]
	v_fmac_f64_e32 v[26:27], s[2:3], v[16:17]
	v_fma_f64 v[18:19], v[54:55], 2.0, -v[22:23]
	v_lshlrev_b32_sdwa v54, v69, v68 dst_sel:DWORD dst_unused:UNUSED_PAD src0_sel:DWORD src1_sel:BYTE_0
	s_movk_i32 s0, 0x88
	v_fma_f64 v[16:17], v[4:5], 2.0, -v[20:21]
	v_fma_f64 v[4:5], v[60:61], 2.0, -v[24:25]
	;; [unrolled: 1-line block ×3, first 2 shown]
	v_add3_u32 v54, 0, v70, v54
	v_cmp_gt_u32_e64 s[0:1], s0, v124
	ds_write2_b64 v54, v[4:5], v[6:7] offset1:17
	ds_write2_b64 v54, v[16:17], v[18:19] offset0:34 offset1:51
	ds_write2_b64 v54, v[24:25], v[26:27] offset0:68 offset1:85
	;; [unrolled: 1-line block ×3, first 2 shown]
	s_waitcnt lgkmcnt(0)
	s_barrier
	s_and_saveexec_b64 s[2:3], s[0:1]
	s_cbranch_execz .LBB0_17
; %bb.16:
	v_add_u32_e32 v0, 0x800, v120
	ds_read2_b64 v[16:19], v0 offset0:16 offset1:152
	v_add_u32_e32 v0, 0x1000, v120
	ds_read2_b64 v[24:27], v0 offset0:32 offset1:168
	;; [unrolled: 2-line block ×3, first 2 shown]
	v_add_u32_e32 v0, 0x2000, v120
	ds_read2_b64 v[4:7], v120 offset1:136
	ds_read2_b64 v[0:3], v0 offset0:64 offset1:200
	ds_read_b64 v[92:93], v120 offset:10880
.LBB0_17:
	s_or_b64 exec, exec, s[2:3]
	v_mul_f64 v[10:11], v[74:75], v[10:11]
	v_fmac_f64_e32 v[10:11], v[32:33], v[8:9]
	v_add_f64 v[8:9], v[28:29], -v[10:11]
	v_fma_f64 v[10:11], v[28:29], 2.0, -v[8:9]
	v_fma_f64 v[28:29], v[36:37], 2.0, -v[34:35]
	v_add_f64 v[28:29], v[10:11], -v[28:29]
	v_add_f64 v[30:31], v[8:9], v[30:31]
	v_fma_f64 v[10:11], v[10:11], 2.0, -v[28:29]
	v_fma_f64 v[36:37], v[8:9], 2.0, -v[30:31]
	;; [unrolled: 1-line block ×3, first 2 shown]
	v_add_f64 v[32:33], v[10:11], -v[8:9]
	v_fma_f64 v[8:9], v[10:11], 2.0, -v[32:33]
	v_add_f64 v[10:11], v[36:37], -v[52:53]
	v_add_f64 v[34:35], v[50:51], v[10:11]
	v_add_f64 v[38:39], v[30:31], v[46:47]
	v_fma_f64 v[10:11], v[36:37], 2.0, -v[34:35]
	v_add_f64 v[36:37], v[28:29], v[40:41]
	v_add_f64 v[38:39], v[44:45], v[38:39]
	v_fma_f64 v[28:29], v[28:29], 2.0, -v[36:37]
	v_fma_f64 v[30:31], v[30:31], 2.0, -v[38:39]
	s_waitcnt lgkmcnt(0)
	s_barrier
	ds_write2_b64 v54, v[8:9], v[10:11] offset1:17
	ds_write2_b64 v54, v[28:29], v[30:31] offset0:34 offset1:51
	ds_write2_b64 v54, v[32:33], v[34:35] offset0:68 offset1:85
	;; [unrolled: 1-line block ×3, first 2 shown]
	s_waitcnt lgkmcnt(0)
	s_barrier
	s_and_saveexec_b64 s[2:3], s[0:1]
	s_cbranch_execnz .LBB0_20
; %bb.18:
	s_or_b64 exec, exec, s[2:3]
	s_and_b64 s[0:1], vcc, s[0:1]
	s_and_saveexec_b64 s[2:3], s[0:1]
	s_cbranch_execnz .LBB0_21
.LBB0_19:
	s_endpgm
.LBB0_20:
	v_add_u32_e32 v12, 0x800, v120
	ds_read2_b64 v[28:31], v12 offset0:16 offset1:152
	v_add_u32_e32 v12, 0x1000, v120
	ds_read2_b64 v[32:35], v12 offset0:32 offset1:168
	;; [unrolled: 2-line block ×3, first 2 shown]
	v_add_u32_e32 v12, 0x2000, v120
	ds_read2_b64 v[8:11], v120 offset1:136
	ds_read2_b64 v[12:15], v12 offset0:64 offset1:200
	ds_read_b64 v[42:43], v120 offset:10880
	s_or_b64 exec, exec, s[2:3]
	s_and_b64 s[0:1], vcc, s[0:1]
	s_and_saveexec_b64 s[2:3], s[0:1]
	s_cbranch_execz .LBB0_19
.LBB0_21:
	v_mul_u32_u24_e32 v40, 10, v124
	v_lshlrev_b32_e32 v40, 4, v40
	global_load_dwordx4 v[52:55], v40, s[4:5] offset:1968
	global_load_dwordx4 v[56:59], v40, s[4:5] offset:1984
	;; [unrolled: 1-line block ×10, first 2 shown]
	s_mov_b32 s14, 0x9bcd5057
	s_mov_b32 s10, 0x8764f0ba
	;; [unrolled: 1-line block ×30, first 2 shown]
	s_waitcnt vmcnt(9) lgkmcnt(4)
	v_mul_f64 v[40:41], v[34:35], v[52:53]
	s_waitcnt vmcnt(8) lgkmcnt(3)
	v_mul_f64 v[44:45], v[36:37], v[56:57]
	v_mul_f64 v[48:49], v[34:35], v[54:55]
	;; [unrolled: 1-line block ×3, first 2 shown]
	s_waitcnt vmcnt(7)
	v_mul_f64 v[36:37], v[32:33], v[60:61]
	s_waitcnt vmcnt(6)
	v_mul_f64 v[34:35], v[38:39], v[64:65]
	;; [unrolled: 2-line block ×3, first 2 shown]
	v_mul_f64 v[104:105], v[28:29], v[78:79]
	s_waitcnt vmcnt(1) lgkmcnt(2)
	v_mul_f64 v[50:51], v[10:11], v[84:85]
	s_waitcnt vmcnt(0) lgkmcnt(0)
	v_mul_f64 v[28:29], v[42:43], v[94:95]
	v_mul_f64 v[100:101], v[38:39], v[66:67]
	;; [unrolled: 1-line block ×7, first 2 shown]
	v_fmac_f64_e32 v[50:51], v[6:7], v[86:87]
	v_fmac_f64_e32 v[28:29], v[92:93], v[96:97]
	v_mul_f64 v[98:99], v[32:33], v[62:63]
	v_mul_f64 v[32:33], v[12:13], v[72:73]
	;; [unrolled: 1-line block ×4, first 2 shown]
	v_fma_f64 v[42:43], v[20:21], v[56:57], -v[88:89]
	v_fmac_f64_e32 v[36:37], v[24:25], v[62:63]
	v_fmac_f64_e32 v[46:47], v[16:17], v[78:79]
	;; [unrolled: 1-line block ×3, first 2 shown]
	v_fma_f64 v[6:7], v[6:7], v[84:85], -v[10:11]
	v_add_f64 v[88:89], v[50:51], v[28:29]
	v_fma_f64 v[62:63], v[92:93], v[94:95], -v[106:107]
	v_fmac_f64_e32 v[40:41], v[26:27], v[54:55]
	v_fmac_f64_e32 v[44:45], v[20:21], v[58:59]
	v_fma_f64 v[26:27], v[26:27], v[52:53], -v[48:49]
	v_fma_f64 v[52:53], v[24:25], v[60:61], -v[98:99]
	v_fmac_f64_e32 v[38:39], v[18:19], v[70:71]
	v_fmac_f64_e32 v[32:33], v[0:1], v[74:75]
	v_fma_f64 v[58:59], v[18:19], v[68:69], -v[102:103]
	v_fma_f64 v[54:55], v[0:1], v[72:73], -v[12:13]
	v_fma_f64 v[60:61], v[16:17], v[76:77], -v[104:105]
	v_fma_f64 v[56:57], v[2:3], v[80:81], -v[14:15]
	v_add_f64 v[86:87], v[46:47], v[30:31]
	v_mul_f64 v[18:19], v[88:89], s[14:15]
	v_add_f64 v[72:73], v[6:7], -v[62:63]
	v_fmac_f64_e32 v[34:35], v[22:23], v[66:67]
	v_add_f64 v[84:85], v[38:39], v[32:33]
	v_add_f64 v[70:71], v[60:61], -v[56:57]
	v_mul_f64 v[16:17], v[86:87], s[10:11]
	v_fma_f64 v[24:25], s[24:25], v[72:73], v[18:19]
	v_fmac_f64_e32 v[18:19], s[26:27], v[72:73]
	v_fma_f64 v[48:49], v[22:23], v[64:65], -v[100:101]
	v_add_f64 v[82:83], v[36:37], v[34:35]
	v_add_f64 v[68:69], v[58:59], -v[54:55]
	v_mul_f64 v[14:15], v[84:85], s[4:5]
	v_fma_f64 v[22:23], s[12:13], v[70:71], v[16:17]
	v_add_f64 v[24:25], v[8:9], v[24:25]
	v_add_f64 v[116:117], v[50:51], -v[28:29]
	v_fmac_f64_e32 v[16:17], s[30:31], v[70:71]
	v_add_f64 v[18:19], v[8:9], v[18:19]
	v_add_f64 v[80:81], v[40:41], v[44:45]
	v_add_f64 v[66:67], v[52:53], -v[48:49]
	v_mul_f64 v[12:13], v[82:83], s[2:3]
	v_fma_f64 v[20:21], s[18:19], v[68:69], v[14:15]
	v_add_f64 v[22:23], v[22:23], v[24:25]
	v_add_f64 v[102:103], v[46:47], -v[30:31]
	v_add_f64 v[94:95], v[6:7], v[62:63]
	v_mul_f64 v[112:113], v[116:117], s[26:27]
	v_fmac_f64_e32 v[14:15], s[22:23], v[68:69]
	v_add_f64 v[16:17], v[16:17], v[18:19]
	v_add_f64 v[64:65], v[26:27], -v[42:43]
	v_mul_f64 v[10:11], v[80:81], s[0:1]
	v_fma_f64 v[2:3], s[6:7], v[66:67], v[12:13]
	v_add_f64 v[20:21], v[20:21], v[22:23]
	v_add_f64 v[96:97], v[40:41], -v[44:45]
	v_add_f64 v[100:101], v[38:39], -v[32:33]
	v_add_f64 v[92:93], v[60:61], v[56:57]
	v_mul_f64 v[108:109], v[102:103], s[30:31]
	v_fma_f64 v[114:115], s[14:15], v[94:95], v[112:113]
	v_fmac_f64_e32 v[12:13], s[28:29], v[66:67]
	v_add_f64 v[14:15], v[14:15], v[16:17]
	v_fma_f64 v[0:1], s[16:17], v[64:65], v[10:11]
	v_add_f64 v[2:3], v[2:3], v[20:21]
	v_add_f64 v[74:75], v[26:27], v[42:43]
	v_mul_f64 v[20:21], v[96:97], s[20:21]
	v_add_f64 v[98:99], v[36:37], -v[34:35]
	v_add_f64 v[78:79], v[58:59], v[54:55]
	v_mul_f64 v[104:105], v[100:101], s[22:23]
	v_fma_f64 v[110:111], s[10:11], v[92:93], v[108:109]
	v_add_f64 v[114:115], v[4:5], v[114:115]
	v_fmac_f64_e32 v[10:11], s[20:21], v[64:65]
	v_add_f64 v[12:13], v[12:13], v[14:15]
	v_add_f64 v[2:3], v[0:1], v[2:3]
	v_fma_f64 v[0:1], s[0:1], v[74:75], v[20:21]
	v_add_f64 v[76:77], v[52:53], v[48:49]
	v_mul_f64 v[22:23], v[98:99], s[28:29]
	v_fma_f64 v[106:107], s[4:5], v[78:79], v[104:105]
	v_add_f64 v[110:111], v[110:111], v[114:115]
	v_add_f64 v[12:13], v[10:11], v[12:13]
	v_fma_f64 v[10:11], v[74:75], s[0:1], -v[20:21]
	v_fma_f64 v[18:19], v[92:93], s[10:11], -v[108:109]
	;; [unrolled: 1-line block ×3, first 2 shown]
	v_mul_f64 v[108:109], v[88:89], s[4:5]
	v_fma_f64 v[24:25], s[2:3], v[76:77], v[22:23]
	v_add_f64 v[106:107], v[106:107], v[110:111]
	v_fma_f64 v[16:17], v[78:79], s[4:5], -v[104:105]
	v_add_f64 v[20:21], v[4:5], v[20:21]
	v_mul_f64 v[104:105], v[86:87], s[0:1]
	v_fma_f64 v[110:111], s[18:19], v[72:73], v[108:109]
	v_mul_f64 v[122:123], v[116:117], s[22:23]
	v_add_f64 v[24:25], v[24:25], v[106:107]
	v_fma_f64 v[14:15], v[76:77], s[2:3], -v[22:23]
	v_add_f64 v[18:19], v[18:19], v[20:21]
	v_mul_f64 v[22:23], v[84:85], s[10:11]
	v_fma_f64 v[106:107], s[20:21], v[70:71], v[104:105]
	v_add_f64 v[110:111], v[8:9], v[110:111]
	v_mul_f64 v[118:119], v[102:103], s[16:17]
	v_fma_f64 v[126:127], s[4:5], v[94:95], v[122:123]
	v_add_f64 v[0:1], v[0:1], v[24:25]
	v_add_f64 v[16:17], v[16:17], v[18:19]
	v_mul_f64 v[20:21], v[82:83], s[14:15]
	v_fma_f64 v[24:25], s[30:31], v[68:69], v[22:23]
	v_add_f64 v[106:107], v[106:107], v[110:111]
	v_mul_f64 v[112:113], v[100:101], s[12:13]
	v_fma_f64 v[120:121], s[0:1], v[92:93], v[118:119]
	v_add_f64 v[126:127], v[4:5], v[126:127]
	v_add_f64 v[14:15], v[14:15], v[16:17]
	v_mul_f64 v[18:19], v[80:81], s[2:3]
	v_fma_f64 v[16:17], s[24:25], v[66:67], v[20:21]
	v_add_f64 v[24:25], v[24:25], v[106:107]
	v_mul_f64 v[110:111], v[98:99], s[26:27]
	v_fma_f64 v[114:115], s[10:11], v[78:79], v[112:113]
	v_add_f64 v[120:121], v[120:121], v[126:127]
	v_add_f64 v[10:11], v[10:11], v[14:15]
	v_fma_f64 v[14:15], s[6:7], v[64:65], v[18:19]
	v_add_f64 v[16:17], v[16:17], v[24:25]
	v_mul_f64 v[106:107], v[96:97], s[28:29]
	v_fma_f64 v[24:25], s[14:15], v[76:77], v[110:111]
	v_add_f64 v[114:115], v[114:115], v[120:121]
	v_add_f64 v[16:17], v[14:15], v[16:17]
	v_fma_f64 v[14:15], s[2:3], v[74:75], v[106:107]
	v_add_f64 v[24:25], v[24:25], v[114:115]
	v_fmac_f64_e32 v[108:109], s[22:23], v[72:73]
	v_add_f64 v[14:15], v[14:15], v[24:25]
	v_fmac_f64_e32 v[104:105], s[16:17], v[70:71]
	v_add_f64 v[24:25], v[8:9], v[108:109]
	v_fmac_f64_e32 v[22:23], s[12:13], v[68:69]
	v_add_f64 v[24:25], v[104:105], v[24:25]
	v_fmac_f64_e32 v[20:21], s[26:27], v[66:67]
	v_add_f64 v[22:23], v[22:23], v[24:25]
	v_fmac_f64_e32 v[18:19], s[28:29], v[64:65]
	v_add_f64 v[20:21], v[20:21], v[22:23]
	v_add_f64 v[24:25], v[18:19], v[20:21]
	v_fma_f64 v[18:19], v[74:75], s[2:3], -v[106:107]
	v_fma_f64 v[106:107], v[94:95], s[4:5], -v[122:123]
	;; [unrolled: 1-line block ×3, first 2 shown]
	v_add_f64 v[106:107], v[4:5], v[106:107]
	v_mul_f64 v[118:119], v[88:89], s[0:1]
	v_fma_f64 v[22:23], v[78:79], s[10:11], -v[112:113]
	v_add_f64 v[104:105], v[104:105], v[106:107]
	v_mul_f64 v[112:113], v[86:87], s[14:15]
	v_fma_f64 v[120:121], s[16:17], v[72:73], v[118:119]
	v_fmac_f64_e32 v[118:119], s[20:21], v[72:73]
	v_fma_f64 v[20:21], v[76:77], s[14:15], -v[110:111]
	v_add_f64 v[22:23], v[22:23], v[104:105]
	v_mul_f64 v[108:109], v[84:85], s[2:3]
	v_fma_f64 v[114:115], s[26:27], v[70:71], v[112:113]
	v_add_f64 v[120:121], v[8:9], v[120:121]
	v_mul_f64 v[132:133], v[116:117], s[20:21]
	v_fmac_f64_e32 v[112:113], s[24:25], v[70:71]
	v_add_f64 v[118:119], v[8:9], v[118:119]
	v_add_f64 v[20:21], v[20:21], v[22:23]
	v_mul_f64 v[106:107], v[82:83], s[10:11]
	v_fma_f64 v[110:111], s[6:7], v[68:69], v[108:109]
	v_add_f64 v[114:115], v[114:115], v[120:121]
	v_mul_f64 v[128:129], v[102:103], s[24:25]
	v_fma_f64 v[134:135], s[0:1], v[94:95], v[132:133]
	v_fmac_f64_e32 v[108:109], s[28:29], v[68:69]
	v_add_f64 v[112:113], v[112:113], v[118:119]
	v_add_f64 v[22:23], v[18:19], v[20:21]
	v_mul_f64 v[104:105], v[80:81], s[4:5]
	v_fma_f64 v[20:21], s[30:31], v[66:67], v[106:107]
	v_add_f64 v[110:111], v[110:111], v[114:115]
	v_mul_f64 v[114:115], v[98:99], s[12:13]
	v_mul_f64 v[122:123], v[100:101], s[28:29]
	v_fma_f64 v[130:131], s[14:15], v[92:93], v[128:129]
	v_add_f64 v[134:135], v[4:5], v[134:135]
	v_fmac_f64_e32 v[106:107], s[12:13], v[66:67]
	v_add_f64 v[108:109], v[108:109], v[112:113]
	v_fma_f64 v[18:19], s[18:19], v[64:65], v[104:105]
	v_add_f64 v[20:21], v[20:21], v[110:111]
	v_mul_f64 v[110:111], v[96:97], s[22:23]
	v_fma_f64 v[120:121], s[10:11], v[76:77], v[114:115]
	v_fma_f64 v[126:127], s[2:3], v[78:79], v[122:123]
	v_add_f64 v[130:131], v[130:131], v[134:135]
	v_fmac_f64_e32 v[104:105], s[22:23], v[64:65]
	v_add_f64 v[106:107], v[106:107], v[108:109]
	v_fma_f64 v[108:109], v[76:77], s[10:11], -v[114:115]
	v_fma_f64 v[112:113], v[92:93], s[14:15], -v[128:129]
	;; [unrolled: 1-line block ×3, first 2 shown]
	v_mul_f64 v[128:129], v[88:89], s[2:3]
	v_add_f64 v[20:21], v[18:19], v[20:21]
	v_fma_f64 v[18:19], s[4:5], v[74:75], v[110:111]
	v_add_f64 v[126:127], v[126:127], v[130:131]
	v_add_f64 v[106:107], v[104:105], v[106:107]
	v_fma_f64 v[104:105], v[74:75], s[4:5], -v[110:111]
	v_fma_f64 v[110:111], v[78:79], s[2:3], -v[122:123]
	v_add_f64 v[114:115], v[4:5], v[114:115]
	v_mul_f64 v[122:123], v[86:87], s[4:5]
	v_fma_f64 v[130:131], s[28:29], v[72:73], v[128:129]
	v_fmac_f64_e32 v[128:129], s[6:7], v[72:73]
	v_add_f64 v[120:121], v[120:121], v[126:127]
	v_add_f64 v[112:113], v[112:113], v[114:115]
	v_mul_f64 v[118:119], v[84:85], s[14:15]
	v_fma_f64 v[126:127], s[18:19], v[70:71], v[122:123]
	v_add_f64 v[130:131], v[8:9], v[130:131]
	v_fmac_f64_e32 v[122:123], s[22:23], v[70:71]
	v_add_f64 v[128:129], v[8:9], v[128:129]
	v_add_f64 v[18:19], v[18:19], v[120:121]
	;; [unrolled: 1-line block ×3, first 2 shown]
	v_mul_f64 v[114:115], v[82:83], s[0:1]
	v_fma_f64 v[120:121], s[26:27], v[68:69], v[118:119]
	v_add_f64 v[126:127], v[126:127], v[130:131]
	v_fmac_f64_e32 v[118:119], s[24:25], v[68:69]
	v_add_f64 v[122:123], v[122:123], v[128:129]
	v_add_f64 v[108:109], v[108:109], v[110:111]
	v_fma_f64 v[110:111], s[20:21], v[66:67], v[114:115]
	v_add_f64 v[120:121], v[120:121], v[126:127]
	v_mul_f64 v[126:127], v[98:99], s[16:17]
	v_mul_f64 v[140:141], v[116:117], s[6:7]
	v_fmac_f64_e32 v[114:115], s[16:17], v[66:67]
	v_add_f64 v[118:119], v[118:119], v[122:123]
	v_mul_f64 v[112:113], v[80:81], s[10:11]
	v_fma_f64 v[130:131], s[0:1], v[76:77], v[126:127]
	v_mul_f64 v[136:137], v[102:103], s[22:23]
	v_add_f64 v[114:115], v[114:115], v[118:119]
	v_fma_f64 v[118:119], v[76:77], s[0:1], -v[126:127]
	v_fma_f64 v[126:127], v[94:95], s[2:3], -v[140:141]
	v_add_f64 v[104:105], v[104:105], v[108:109]
	v_fma_f64 v[108:109], s[12:13], v[64:65], v[112:113]
	v_add_f64 v[110:111], v[110:111], v[120:121]
	v_mul_f64 v[120:121], v[96:97], s[30:31]
	v_mul_f64 v[132:133], v[100:101], s[24:25]
	v_fmac_f64_e32 v[112:113], s[30:31], v[64:65]
	v_fma_f64 v[122:123], v[92:93], s[4:5], -v[136:137]
	v_add_f64 v[126:127], v[4:5], v[126:127]
	v_add_f64 v[110:111], v[108:109], v[110:111]
	v_fma_f64 v[108:109], s[10:11], v[74:75], v[120:121]
	v_add_f64 v[114:115], v[112:113], v[114:115]
	v_fma_f64 v[112:113], v[74:75], s[10:11], -v[120:121]
	v_fma_f64 v[120:121], v[78:79], s[14:15], -v[132:133]
	v_add_f64 v[122:123], v[122:123], v[126:127]
	v_add_f64 v[120:121], v[120:121], v[122:123]
	v_add_f64 v[118:119], v[118:119], v[120:121]
	v_mul_f64 v[88:89], v[88:89], s[10:11]
	v_fma_f64 v[142:143], s[2:3], v[94:95], v[140:141]
	v_add_f64 v[112:113], v[112:113], v[118:119]
	v_mul_f64 v[118:119], v[80:81], s[14:15]
	v_mul_f64 v[86:87], v[86:87], s[2:3]
	v_fma_f64 v[128:129], s[30:31], v[72:73], v[88:89]
	v_fmac_f64_e32 v[88:89], s[12:13], v[72:73]
	v_fma_f64 v[138:139], s[4:5], v[92:93], v[136:137]
	v_add_f64 v[142:143], v[4:5], v[142:143]
	v_fma_f64 v[80:81], s[24:25], v[64:65], v[118:119]
	v_mul_f64 v[84:85], v[84:85], s[0:1]
	v_fma_f64 v[126:127], s[28:29], v[70:71], v[86:87]
	v_add_f64 v[128:129], v[8:9], v[128:129]
	v_fmac_f64_e32 v[118:119], s[26:27], v[64:65]
	v_fmac_f64_e32 v[86:87], s[6:7], v[70:71]
	v_add_f64 v[64:65], v[8:9], v[88:89]
	v_fma_f64 v[134:135], s[14:15], v[78:79], v[132:133]
	v_add_f64 v[138:139], v[138:139], v[142:143]
	v_mul_f64 v[120:121], v[82:83], s[4:5]
	v_fma_f64 v[122:123], s[16:17], v[68:69], v[84:85]
	v_add_f64 v[126:127], v[126:127], v[128:129]
	v_fmac_f64_e32 v[84:85], s[20:21], v[68:69]
	v_add_f64 v[64:65], v[86:87], v[64:65]
	v_add_f64 v[134:135], v[134:135], v[138:139]
	v_fma_f64 v[82:83], s[18:19], v[66:67], v[120:121]
	v_add_f64 v[122:123], v[122:123], v[126:127]
	v_fmac_f64_e32 v[120:121], s[22:23], v[66:67]
	v_add_f64 v[64:65], v[84:85], v[64:65]
	v_add_f64 v[130:131], v[130:131], v[134:135]
	v_add_f64 v[82:83], v[82:83], v[122:123]
	v_mul_f64 v[96:97], v[96:97], s[26:27]
	v_mul_f64 v[116:117], v[116:117], s[12:13]
	v_add_f64 v[64:65], v[120:121], v[64:65]
	v_add_f64 v[108:109], v[108:109], v[130:131]
	;; [unrolled: 1-line block ×3, first 2 shown]
	v_fma_f64 v[80:81], s[14:15], v[74:75], v[96:97]
	v_fma_f64 v[130:131], s[10:11], v[94:95], v[116:117]
	v_add_f64 v[66:67], v[118:119], v[64:65]
	v_fma_f64 v[64:65], v[74:75], s[14:15], -v[96:97]
	v_fma_f64 v[74:75], v[94:95], s[10:11], -v[116:117]
	v_add_f64 v[130:131], v[4:5], v[130:131]
	v_add_f64 v[74:75], v[4:5], v[74:75]
	;; [unrolled: 1-line block ×14, first 2 shown]
	v_mul_f64 v[100:101], v[100:101], s[20:21]
	v_add_f64 v[8:9], v[40:41], v[8:9]
	v_add_f64 v[4:5], v[56:57], v[4:5]
	v_fma_f64 v[126:127], s[0:1], v[78:79], v[100:101]
	v_fma_f64 v[70:71], v[78:79], s[0:1], -v[100:101]
	v_add_f64 v[8:9], v[44:45], v[8:9]
	v_add_f64 v[6:7], v[62:63], v[4:5]
	v_mad_u64_u32 v[4:5], s[0:1], s8, v124, 0
	v_add_f64 v[8:9], v[34:35], v[8:9]
	v_mov_b32_e32 v26, v5
	v_add_f64 v[8:9], v[32:33], v[8:9]
	v_mad_u64_u32 v[26:27], s[0:1], s9, v124, v[26:27]
	v_add_f64 v[8:9], v[30:31], v[8:9]
	v_mov_b32_e32 v5, v26
	v_add_f64 v[8:9], v[28:29], v[8:9]
	v_lshl_add_u64 v[4:5], v[4:5], 4, v[90:91]
	v_mul_f64 v[102:103], v[102:103], s[6:7]
	global_store_dwordx4 v[4:5], v[6:9], off
	v_fma_f64 v[72:73], v[92:93], s[2:3], -v[102:103]
	v_mul_f64 v[98:99], v[98:99], s[22:23]
	v_add_u32_e32 v7, 0x88, v124
	v_mad_u64_u32 v[4:5], s[0:1], s8, v7, 0
	v_add_f64 v[72:73], v[72:73], v[74:75]
	v_mov_b32_e32 v6, v5
	v_fma_f64 v[68:69], v[76:77], s[4:5], -v[98:99]
	v_add_f64 v[70:71], v[70:71], v[72:73]
	v_mad_u64_u32 v[6:7], s[0:1], s9, v7, v[6:7]
	v_add_f64 v[68:69], v[68:69], v[70:71]
	v_mov_b32_e32 v5, v6
	v_add_f64 v[64:65], v[64:65], v[68:69]
	v_lshl_add_u64 v[4:5], v[4:5], 4, v[90:91]
	v_add_u32_e32 v7, 0x110, v124
	global_store_dwordx4 v[4:5], v[64:67], off
	v_mad_u64_u32 v[4:5], s[0:1], s8, v7, 0
	v_mov_b32_e32 v6, v5
	v_mad_u64_u32 v[6:7], s[0:1], s9, v7, v[6:7]
	v_mov_b32_e32 v5, v6
	v_lshl_add_u64 v[4:5], v[4:5], 4, v[90:91]
	v_add_u32_e32 v7, 0x198, v124
	global_store_dwordx4 v[4:5], v[112:115], off
	v_mad_u64_u32 v[4:5], s[0:1], s8, v7, 0
	v_mov_b32_e32 v6, v5
	v_mad_u64_u32 v[6:7], s[0:1], s9, v7, v[6:7]
	v_mov_b32_e32 v5, v6
	;; [unrolled: 7-line block ×5, first 2 shown]
	v_lshl_add_u64 v[4:5], v[4:5], 4, v[90:91]
	global_store_dwordx4 v[4:5], v[0:3], off
	v_fma_f64 v[128:129], s[2:3], v[92:93], v[102:103]
	v_add_f64 v[128:129], v[128:129], v[130:131]
	v_add_u32_e32 v3, 0x3b8, v124
	v_mad_u64_u32 v[0:1], s[0:1], s8, v3, 0
	v_mov_b32_e32 v2, v1
	v_mad_u64_u32 v[2:3], s[0:1], s9, v3, v[2:3]
	v_mov_b32_e32 v1, v2
	v_lshl_add_u64 v[0:1], v[0:1], 4, v[90:91]
	v_add_u32_e32 v3, 0x440, v124
	global_store_dwordx4 v[0:1], v[14:17], off
	v_mad_u64_u32 v[0:1], s[0:1], s8, v3, 0
	v_mov_b32_e32 v2, v1
	v_mad_u64_u32 v[2:3], s[0:1], s9, v3, v[2:3]
	v_mov_b32_e32 v1, v2
	v_lshl_add_u64 v[0:1], v[0:1], 4, v[90:91]
	v_add_u32_e32 v3, 0x4c8, v124
	global_store_dwordx4 v[0:1], v[18:21], off
	v_mad_u64_u32 v[0:1], s[0:1], s8, v3, 0
	v_mov_b32_e32 v2, v1
	v_mad_u64_u32 v[2:3], s[0:1], s9, v3, v[2:3]
	v_mov_b32_e32 v1, v2
	v_lshl_add_u64 v[0:1], v[0:1], 4, v[90:91]
	v_add_u32_e32 v3, 0x550, v124
	global_store_dwordx4 v[0:1], v[108:111], off
	v_mad_u64_u32 v[0:1], s[0:1], s8, v3, 0
	v_mov_b32_e32 v2, v1
	v_fma_f64 v[122:123], s[4:5], v[76:77], v[98:99]
	v_add_f64 v[126:127], v[126:127], v[128:129]
	v_mad_u64_u32 v[2:3], s[0:1], s9, v3, v[2:3]
	v_add_f64 v[122:123], v[122:123], v[126:127]
	v_mov_b32_e32 v1, v2
	v_add_f64 v[80:81], v[80:81], v[122:123]
	v_lshl_add_u64 v[0:1], v[0:1], 4, v[90:91]
	global_store_dwordx4 v[0:1], v[80:83], off
	s_endpgm
	.section	.rodata,"a",@progbits
	.p2align	6, 0x0
	.amdhsa_kernel fft_rtc_fwd_len1496_factors_17_8_11_wgs_187_tpt_187_halfLds_dp_ip_CI_sbrr_dirReg
		.amdhsa_group_segment_fixed_size 0
		.amdhsa_private_segment_fixed_size 0
		.amdhsa_kernarg_size 88
		.amdhsa_user_sgpr_count 2
		.amdhsa_user_sgpr_dispatch_ptr 0
		.amdhsa_user_sgpr_queue_ptr 0
		.amdhsa_user_sgpr_kernarg_segment_ptr 1
		.amdhsa_user_sgpr_dispatch_id 0
		.amdhsa_user_sgpr_kernarg_preload_length 0
		.amdhsa_user_sgpr_kernarg_preload_offset 0
		.amdhsa_user_sgpr_private_segment_size 0
		.amdhsa_uses_dynamic_stack 0
		.amdhsa_enable_private_segment 0
		.amdhsa_system_sgpr_workgroup_id_x 1
		.amdhsa_system_sgpr_workgroup_id_y 0
		.amdhsa_system_sgpr_workgroup_id_z 0
		.amdhsa_system_sgpr_workgroup_info 0
		.amdhsa_system_vgpr_workitem_id 0
		.amdhsa_next_free_vgpr 160
		.amdhsa_next_free_sgpr 58
		.amdhsa_accum_offset 160
		.amdhsa_reserve_vcc 1
		.amdhsa_float_round_mode_32 0
		.amdhsa_float_round_mode_16_64 0
		.amdhsa_float_denorm_mode_32 3
		.amdhsa_float_denorm_mode_16_64 3
		.amdhsa_dx10_clamp 1
		.amdhsa_ieee_mode 1
		.amdhsa_fp16_overflow 0
		.amdhsa_tg_split 0
		.amdhsa_exception_fp_ieee_invalid_op 0
		.amdhsa_exception_fp_denorm_src 0
		.amdhsa_exception_fp_ieee_div_zero 0
		.amdhsa_exception_fp_ieee_overflow 0
		.amdhsa_exception_fp_ieee_underflow 0
		.amdhsa_exception_fp_ieee_inexact 0
		.amdhsa_exception_int_div_zero 0
	.end_amdhsa_kernel
	.text
.Lfunc_end0:
	.size	fft_rtc_fwd_len1496_factors_17_8_11_wgs_187_tpt_187_halfLds_dp_ip_CI_sbrr_dirReg, .Lfunc_end0-fft_rtc_fwd_len1496_factors_17_8_11_wgs_187_tpt_187_halfLds_dp_ip_CI_sbrr_dirReg
                                        ; -- End function
	.section	.AMDGPU.csdata,"",@progbits
; Kernel info:
; codeLenInByte = 13260
; NumSgprs: 64
; NumVgprs: 160
; NumAgprs: 0
; TotalNumVgprs: 160
; ScratchSize: 0
; MemoryBound: 1
; FloatMode: 240
; IeeeMode: 1
; LDSByteSize: 0 bytes/workgroup (compile time only)
; SGPRBlocks: 7
; VGPRBlocks: 19
; NumSGPRsForWavesPerEU: 64
; NumVGPRsForWavesPerEU: 160
; AccumOffset: 160
; Occupancy: 3
; WaveLimiterHint : 1
; COMPUTE_PGM_RSRC2:SCRATCH_EN: 0
; COMPUTE_PGM_RSRC2:USER_SGPR: 2
; COMPUTE_PGM_RSRC2:TRAP_HANDLER: 0
; COMPUTE_PGM_RSRC2:TGID_X_EN: 1
; COMPUTE_PGM_RSRC2:TGID_Y_EN: 0
; COMPUTE_PGM_RSRC2:TGID_Z_EN: 0
; COMPUTE_PGM_RSRC2:TIDIG_COMP_CNT: 0
; COMPUTE_PGM_RSRC3_GFX90A:ACCUM_OFFSET: 39
; COMPUTE_PGM_RSRC3_GFX90A:TG_SPLIT: 0
	.text
	.p2alignl 6, 3212836864
	.fill 256, 4, 3212836864
	.type	__hip_cuid_c2ceb48cfd4ab46e,@object ; @__hip_cuid_c2ceb48cfd4ab46e
	.section	.bss,"aw",@nobits
	.globl	__hip_cuid_c2ceb48cfd4ab46e
__hip_cuid_c2ceb48cfd4ab46e:
	.byte	0                               ; 0x0
	.size	__hip_cuid_c2ceb48cfd4ab46e, 1

	.ident	"AMD clang version 19.0.0git (https://github.com/RadeonOpenCompute/llvm-project roc-6.4.0 25133 c7fe45cf4b819c5991fe208aaa96edf142730f1d)"
	.section	".note.GNU-stack","",@progbits
	.addrsig
	.addrsig_sym __hip_cuid_c2ceb48cfd4ab46e
	.amdgpu_metadata
---
amdhsa.kernels:
  - .agpr_count:     0
    .args:
      - .actual_access:  read_only
        .address_space:  global
        .offset:         0
        .size:           8
        .value_kind:     global_buffer
      - .offset:         8
        .size:           8
        .value_kind:     by_value
      - .actual_access:  read_only
        .address_space:  global
        .offset:         16
        .size:           8
        .value_kind:     global_buffer
      - .actual_access:  read_only
        .address_space:  global
        .offset:         24
        .size:           8
        .value_kind:     global_buffer
      - .offset:         32
        .size:           8
        .value_kind:     by_value
      - .actual_access:  read_only
        .address_space:  global
        .offset:         40
        .size:           8
        .value_kind:     global_buffer
      - .actual_access:  read_only
        .address_space:  global
        .offset:         48
        .size:           8
        .value_kind:     global_buffer
      - .offset:         56
        .size:           4
        .value_kind:     by_value
      - .actual_access:  read_only
        .address_space:  global
        .offset:         64
        .size:           8
        .value_kind:     global_buffer
      - .actual_access:  read_only
        .address_space:  global
        .offset:         72
        .size:           8
        .value_kind:     global_buffer
      - .address_space:  global
        .offset:         80
        .size:           8
        .value_kind:     global_buffer
    .group_segment_fixed_size: 0
    .kernarg_segment_align: 8
    .kernarg_segment_size: 88
    .language:       OpenCL C
    .language_version:
      - 2
      - 0
    .max_flat_workgroup_size: 187
    .name:           fft_rtc_fwd_len1496_factors_17_8_11_wgs_187_tpt_187_halfLds_dp_ip_CI_sbrr_dirReg
    .private_segment_fixed_size: 0
    .sgpr_count:     64
    .sgpr_spill_count: 0
    .symbol:         fft_rtc_fwd_len1496_factors_17_8_11_wgs_187_tpt_187_halfLds_dp_ip_CI_sbrr_dirReg.kd
    .uniform_work_group_size: 1
    .uses_dynamic_stack: false
    .vgpr_count:     160
    .vgpr_spill_count: 0
    .wavefront_size: 64
amdhsa.target:   amdgcn-amd-amdhsa--gfx950
amdhsa.version:
  - 1
  - 2
...

	.end_amdgpu_metadata
